;; amdgpu-corpus repo=ROCm/rocFFT kind=compiled arch=gfx1030 opt=O3
	.text
	.amdgcn_target "amdgcn-amd-amdhsa--gfx1030"
	.amdhsa_code_object_version 6
	.protected	bluestein_single_fwd_len1785_dim1_half_op_CI_CI ; -- Begin function bluestein_single_fwd_len1785_dim1_half_op_CI_CI
	.globl	bluestein_single_fwd_len1785_dim1_half_op_CI_CI
	.p2align	8
	.type	bluestein_single_fwd_len1785_dim1_half_op_CI_CI,@function
bluestein_single_fwd_len1785_dim1_half_op_CI_CI: ; @bluestein_single_fwd_len1785_dim1_half_op_CI_CI
; %bb.0:
	s_load_dwordx4 s[0:3], s[4:5], 0x28
	v_mul_u32_u24_e32 v1, 0x227, v0
	v_mov_b32_e32 v25, 0
	v_lshrrev_b32_e32 v1, 16, v1
	v_add_nc_u32_e32 v24, s6, v1
	s_waitcnt lgkmcnt(0)
	v_cmp_gt_u64_e32 vcc_lo, s[0:1], v[24:25]
	s_and_saveexec_b32 s0, vcc_lo
	s_cbranch_execz .LBB0_23
; %bb.1:
	s_clause 0x1
	s_load_dwordx2 s[12:13], s[4:5], 0x0
	s_load_dwordx2 s[14:15], s[4:5], 0x38
	v_mul_lo_u16 v1, 0x77, v1
	v_sub_nc_u16 v0, v0, v1
	v_and_b32_e32 v64, 0xffff, v0
	v_cmp_gt_u16_e32 vcc_lo, 0x69, v0
	v_lshlrev_b32_e32 v63, 2, v64
	s_and_saveexec_b32 s1, vcc_lo
	s_cbranch_execz .LBB0_3
; %bb.2:
	s_load_dwordx2 s[6:7], s[4:5], 0x18
	s_waitcnt lgkmcnt(0)
	v_add_co_u32 v8, s0, s12, v63
	v_add_co_ci_u32_e64 v9, null, s13, 0, s0
	v_add_nc_u32_e32 v39, 0xc00, v63
	v_add_nc_u32_e32 v43, 0x1000, v63
	s_load_dwordx4 s[8:11], s[6:7], 0x0
	s_clause 0x4
	global_load_dword v10, v63, s[12:13]
	global_load_dword v11, v63, s[12:13] offset:420
	global_load_dword v12, v63, s[12:13] offset:840
	;; [unrolled: 1-line block ×4, first 2 shown]
	s_waitcnt lgkmcnt(0)
	v_mad_u64_u32 v[0:1], null, s10, v24, 0
	v_mad_u64_u32 v[2:3], null, s8, v64, 0
	s_mul_i32 s6, s9, 0x1a4
	s_mul_hi_u32 s7, s8, 0x1a4
	v_mad_u64_u32 v[4:5], null, s11, v24, v[1:2]
	v_mad_u64_u32 v[5:6], null, s9, v64, v[3:4]
	v_mov_b32_e32 v1, v4
	v_lshlrev_b64 v[0:1], 2, v[0:1]
	v_mov_b32_e32 v3, v5
	v_add_co_u32 v0, s0, s2, v0
	v_lshlrev_b64 v[2:3], 2, v[2:3]
	v_add_co_ci_u32_e64 v1, s0, s3, v1, s0
	s_mul_i32 s2, s8, 0x1a4
	s_add_i32 s3, s7, s6
	v_add_co_u32 v0, s0, v0, v2
	v_add_co_ci_u32_e64 v1, s0, v1, v3, s0
	v_add_co_u32 v2, s0, v0, s2
	v_add_co_ci_u32_e64 v3, s0, s3, v1, s0
	global_load_dword v15, v[0:1], off
	v_add_co_u32 v0, s0, v2, s2
	v_add_co_ci_u32_e64 v1, s0, s3, v3, s0
	v_add_co_u32 v4, s0, 0x800, v8
	v_add_co_ci_u32_e64 v5, s0, 0, v9, s0
	s_clause 0x1
	global_load_dword v16, v[2:3], off
	global_load_dword v17, v[0:1], off
	v_add_co_u32 v0, s0, v0, s2
	v_add_co_ci_u32_e64 v1, s0, s3, v1, s0
	s_clause 0x2
	global_load_dword v18, v[4:5], off offset:52
	global_load_dword v19, v[4:5], off offset:472
	;; [unrolled: 1-line block ×3, first 2 shown]
	v_add_co_u32 v2, s0, v0, s2
	v_add_co_ci_u32_e64 v3, s0, s3, v1, s0
	s_clause 0x1
	global_load_dword v21, v[0:1], off
	global_load_dword v22, v[2:3], off
	v_add_co_u32 v0, s0, v2, s2
	v_add_co_ci_u32_e64 v1, s0, s3, v3, s0
	v_add_co_u32 v2, s0, v0, s2
	v_add_co_ci_u32_e64 v3, s0, s3, v1, s0
	global_load_dword v23, v[0:1], off
	v_add_co_u32 v0, s0, v2, s2
	v_add_co_ci_u32_e64 v1, s0, s3, v3, s0
	global_load_dword v25, v[2:3], off
	v_add_co_u32 v2, s0, v0, s2
	v_add_co_ci_u32_e64 v3, s0, s3, v1, s0
	global_load_dword v26, v[0:1], off
	v_add_co_u32 v0, s0, v2, s2
	v_add_co_ci_u32_e64 v1, s0, s3, v3, s0
	v_add_co_u32 v6, s0, 0x1000, v8
	v_add_co_ci_u32_e64 v7, s0, 0, v9, s0
	s_clause 0x1
	global_load_dword v27, v[4:5], off offset:1312
	global_load_dword v28, v[4:5], off offset:1732
	global_load_dword v29, v[2:3], off
	global_load_dword v30, v[0:1], off
	v_add_co_u32 v0, s0, v0, s2
	v_add_co_ci_u32_e64 v1, s0, s3, v1, s0
	s_clause 0x4
	global_load_dword v31, v[6:7], off offset:104
	global_load_dword v32, v[6:7], off offset:524
	;; [unrolled: 1-line block ×5, first 2 shown]
	v_add_co_u32 v2, s0, v0, s2
	v_add_co_ci_u32_e64 v3, s0, s3, v1, s0
	global_load_dword v7, v[0:1], off
	v_add_co_u32 v0, s0, v2, s2
	v_add_co_ci_u32_e64 v1, s0, s3, v3, s0
	global_load_dword v35, v[2:3], off
	v_add_co_u32 v2, s0, v0, s2
	v_add_co_ci_u32_e64 v3, s0, s3, v1, s0
	global_load_dword v36, v[0:1], off
	v_add_co_u32 v0, s0, v2, s2
	v_add_co_ci_u32_e64 v1, s0, s3, v3, s0
	global_load_dword v37, v[2:3], off
	v_add_co_u32 v2, s0, v0, s2
	v_add_co_ci_u32_e64 v3, s0, s3, v1, s0
	global_load_dword v38, v[0:1], off
	v_add_co_u32 v0, s0, v2, s2
	v_add_co_ci_u32_e64 v1, s0, s3, v3, s0
	v_add_co_u32 v4, s0, 0x1800, v8
	v_add_co_ci_u32_e64 v5, s0, 0, v9, s0
	global_load_dword v2, v[2:3], off
	global_load_dword v0, v[0:1], off
	s_clause 0x1
	global_load_dword v1, v[4:5], off offset:156
	global_load_dword v3, v[4:5], off offset:576
	v_add_nc_u32_e32 v4, 0x200, v63
	v_add_nc_u32_e32 v8, 0x600, v63
	;; [unrolled: 1-line block ×3, first 2 shown]
	s_waitcnt vmcnt(28)
	v_lshrrev_b32_e32 v5, 16, v15
	v_mul_f16_sdwa v40, v10, v15 dst_sel:DWORD dst_unused:UNUSED_PAD src0_sel:WORD_1 src1_sel:DWORD
	v_mul_f16_sdwa v41, v10, v5 dst_sel:DWORD dst_unused:UNUSED_PAD src0_sel:WORD_1 src1_sel:DWORD
	v_fma_f16 v5, v10, v5, -v40
	s_waitcnt vmcnt(27)
	v_lshrrev_b32_e32 v42, 16, v16
	v_mul_f16_sdwa v44, v11, v16 dst_sel:DWORD dst_unused:UNUSED_PAD src0_sel:WORD_1 src1_sel:DWORD
	v_fmac_f16_e32 v41, v10, v15
	s_waitcnt vmcnt(26)
	v_lshrrev_b32_e32 v15, 16, v17
	v_mul_f16_sdwa v10, v11, v42 dst_sel:DWORD dst_unused:UNUSED_PAD src0_sel:WORD_1 src1_sel:DWORD
	v_fma_f16 v40, v11, v42, -v44
	v_mul_f16_sdwa v42, v12, v17 dst_sel:DWORD dst_unused:UNUSED_PAD src0_sel:WORD_1 src1_sel:DWORD
	v_pack_b32_f16 v5, v41, v5
	v_fmac_f16_e32 v10, v11, v16
	v_mul_f16_sdwa v11, v12, v15 dst_sel:DWORD dst_unused:UNUSED_PAD src0_sel:WORD_1 src1_sel:DWORD
	s_waitcnt vmcnt(22)
	v_lshrrev_b32_e32 v16, 16, v21
	v_mul_f16_sdwa v41, v13, v21 dst_sel:DWORD dst_unused:UNUSED_PAD src0_sel:WORD_1 src1_sel:DWORD
	v_fma_f16 v15, v12, v15, -v42
	v_pack_b32_f16 v10, v10, v40
	v_fmac_f16_e32 v11, v12, v17
	v_mul_f16_sdwa v12, v13, v16 dst_sel:DWORD dst_unused:UNUSED_PAD src0_sel:WORD_1 src1_sel:DWORD
	s_waitcnt vmcnt(21)
	v_lshrrev_b32_e32 v17, 16, v22
	v_fma_f16 v16, v13, v16, -v41
	v_mul_f16_sdwa v40, v14, v22 dst_sel:DWORD dst_unused:UNUSED_PAD src0_sel:WORD_1 src1_sel:DWORD
	ds_write2_b32 v63, v5, v10 offset1:105
	v_pack_b32_f16 v5, v11, v15
	v_fmac_f16_e32 v12, v13, v21
	v_mul_f16_sdwa v10, v14, v17 dst_sel:DWORD dst_unused:UNUSED_PAD src0_sel:WORD_1 src1_sel:DWORD
	s_waitcnt vmcnt(20)
	v_lshrrev_b32_e32 v11, 16, v23
	v_mul_f16_sdwa v13, v18, v23 dst_sel:DWORD dst_unused:UNUSED_PAD src0_sel:WORD_1 src1_sel:DWORD
	v_fma_f16 v15, v14, v17, -v40
	v_pack_b32_f16 v12, v12, v16
	v_fmac_f16_e32 v10, v14, v22
	v_mul_f16_sdwa v14, v18, v11 dst_sel:DWORD dst_unused:UNUSED_PAD src0_sel:WORD_1 src1_sel:DWORD
	v_fma_f16 v11, v18, v11, -v13
	s_waitcnt vmcnt(19)
	v_lshrrev_b32_e32 v13, 16, v25
	v_mul_f16_sdwa v16, v19, v25 dst_sel:DWORD dst_unused:UNUSED_PAD src0_sel:WORD_1 src1_sel:DWORD
	ds_write2_b32 v4, v5, v12 offset0:82 offset1:187
	v_pack_b32_f16 v4, v10, v15
	v_fmac_f16_e32 v14, v18, v23
	v_mul_f16_sdwa v5, v19, v13 dst_sel:DWORD dst_unused:UNUSED_PAD src0_sel:WORD_1 src1_sel:DWORD
	s_waitcnt vmcnt(18)
	v_lshrrev_b32_e32 v10, 16, v26
	v_mul_f16_sdwa v12, v20, v26 dst_sel:DWORD dst_unused:UNUSED_PAD src0_sel:WORD_1 src1_sel:DWORD
	v_fma_f16 v13, v19, v13, -v16
	v_pack_b32_f16 v11, v14, v11
	v_fmac_f16_e32 v5, v19, v25
	v_mul_f16_sdwa v14, v20, v10 dst_sel:DWORD dst_unused:UNUSED_PAD src0_sel:WORD_1 src1_sel:DWORD
	v_fma_f16 v10, v20, v10, -v12
	s_waitcnt vmcnt(15)
	v_lshrrev_b32_e32 v12, 16, v29
	v_mul_f16_sdwa v15, v27, v29 dst_sel:DWORD dst_unused:UNUSED_PAD src0_sel:WORD_1 src1_sel:DWORD
	ds_write2_b32 v8, v4, v11 offset0:36 offset1:141
	;; [unrolled: 15-line block ×3, first 2 shown]
	v_pack_b32_f16 v4, v5, v12
	s_waitcnt vmcnt(7)
	v_lshrrev_b32_e32 v9, 16, v35
	v_mul_f16_sdwa v5, v31, v11 dst_sel:DWORD dst_unused:UNUSED_PAD src0_sel:WORD_1 src1_sel:DWORD
	v_fmac_f16_e32 v13, v28, v30
	v_fma_f16 v10, v31, v11, -v14
	v_mul_f16_sdwa v11, v32, v35 dst_sel:DWORD dst_unused:UNUSED_PAD src0_sel:WORD_1 src1_sel:DWORD
	s_waitcnt vmcnt(6)
	v_lshrrev_b32_e32 v12, 16, v36
	v_fmac_f16_e32 v5, v31, v7
	v_mul_f16_sdwa v7, v32, v9 dst_sel:DWORD dst_unused:UNUSED_PAD src0_sel:WORD_1 src1_sel:DWORD
	v_pack_b32_f16 v8, v13, v8
	v_fma_f16 v9, v32, v9, -v11
	v_mul_f16_sdwa v11, v33, v36 dst_sel:DWORD dst_unused:UNUSED_PAD src0_sel:WORD_1 src1_sel:DWORD
	s_waitcnt vmcnt(5)
	v_lshrrev_b32_e32 v13, 16, v37
	v_fmac_f16_e32 v7, v32, v35
	v_pack_b32_f16 v5, v5, v10
	v_mul_f16_sdwa v10, v33, v12 dst_sel:DWORD dst_unused:UNUSED_PAD src0_sel:WORD_1 src1_sel:DWORD
	v_fma_f16 v11, v33, v12, -v11
	v_mul_f16_sdwa v12, v34, v37 dst_sel:DWORD dst_unused:UNUSED_PAD src0_sel:WORD_1 src1_sel:DWORD
	v_pack_b32_f16 v7, v7, v9
	v_mul_f16_sdwa v9, v34, v13 dst_sel:DWORD dst_unused:UNUSED_PAD src0_sel:WORD_1 src1_sel:DWORD
	v_fmac_f16_e32 v10, v33, v36
	s_waitcnt vmcnt(4)
	v_lshrrev_b32_e32 v14, 16, v38
	v_fma_f16 v12, v34, v13, -v12
	v_mul_f16_sdwa v13, v6, v38 dst_sel:DWORD dst_unused:UNUSED_PAD src0_sel:WORD_1 src1_sel:DWORD
	v_fmac_f16_e32 v9, v34, v37
	s_waitcnt vmcnt(3)
	v_lshrrev_b32_e32 v15, 16, v2
	s_waitcnt vmcnt(2)
	v_lshrrev_b32_e32 v16, 16, v0
	v_pack_b32_f16 v10, v10, v11
	v_mul_f16_sdwa v11, v6, v14 dst_sel:DWORD dst_unused:UNUSED_PAD src0_sel:WORD_1 src1_sel:DWORD
	v_fma_f16 v13, v6, v14, -v13
	s_waitcnt vmcnt(1)
	v_mul_f16_sdwa v14, v1, v2 dst_sel:DWORD dst_unused:UNUSED_PAD src0_sel:WORD_1 src1_sel:DWORD
	v_pack_b32_f16 v9, v9, v12
	v_mul_f16_sdwa v12, v1, v15 dst_sel:DWORD dst_unused:UNUSED_PAD src0_sel:WORD_1 src1_sel:DWORD
	s_waitcnt vmcnt(0)
	v_mul_f16_sdwa v17, v3, v16 dst_sel:DWORD dst_unused:UNUSED_PAD src0_sel:WORD_1 src1_sel:DWORD
	v_mul_f16_sdwa v18, v3, v0 dst_sel:DWORD dst_unused:UNUSED_PAD src0_sel:WORD_1 src1_sel:DWORD
	v_fmac_f16_e32 v11, v6, v38
	v_fma_f16 v6, v1, v15, -v14
	v_fmac_f16_e32 v12, v1, v2
	v_fmac_f16_e32 v17, v3, v0
	v_fma_f16 v0, v3, v16, -v18
	v_add_nc_u32_e32 v1, 0x1200, v63
	v_pack_b32_f16 v2, v11, v13
	v_pack_b32_f16 v3, v12, v6
	v_add_nc_u32_e32 v6, 0x1600, v63
	v_pack_b32_f16 v0, v17, v0
	ds_write2_b32 v39, v4, v8 offset0:72 offset1:177
	ds_write2_b32 v43, v5, v7 offset0:26 offset1:131
	;; [unrolled: 1-line block ×4, first 2 shown]
	ds_write_b32 v63, v0 offset:6720
.LBB0_3:
	s_or_b32 exec_lo, exec_lo, s1
	s_clause 0x1
	s_load_dwordx2 s[0:1], s[4:5], 0x20
	s_load_dwordx2 s[2:3], s[4:5], 0x8
	v_mov_b32_e32 v8, 0
	s_waitcnt lgkmcnt(0)
	s_barrier
	buffer_gl0_inv
                                        ; implicit-def: $vgpr16
                                        ; implicit-def: $vgpr1
                                        ; implicit-def: $vgpr3
                                        ; implicit-def: $vgpr5
                                        ; implicit-def: $vgpr7
                                        ; implicit-def: $vgpr11
                                        ; implicit-def: $vgpr13
                                        ; implicit-def: $vgpr15
                                        ; implicit-def: $vgpr88
                                        ; kill: def $vgpr0 killed $sgpr0 killed $exec
	s_and_saveexec_b32 s4, vcc_lo
	s_cbranch_execz .LBB0_5
; %bb.4:
	v_add_nc_u32_e32 v0, 0x200, v63
	v_add_nc_u32_e32 v1, 0x600, v63
	;; [unrolled: 1-line block ×3, first 2 shown]
	ds_read2_b32 v[8:9], v63 offset1:105
	v_add_nc_u32_e32 v3, 0x1200, v63
	ds_read2_b32 v[14:15], v0 offset0:82 offset1:187
	ds_read2_b32 v[12:13], v1 offset0:36 offset1:141
	v_add_nc_u32_e32 v0, 0xc00, v63
	v_add_nc_u32_e32 v1, 0x1000, v63
	v_add_nc_u32_e32 v16, 0x1600, v63
	ds_read2_b32 v[10:11], v2 offset0:118 offset1:223
	ds_read2_b32 v[6:7], v0 offset0:72 offset1:177
	;; [unrolled: 1-line block ×5, first 2 shown]
	ds_read_b32 v16, v63 offset:6720
	s_waitcnt lgkmcnt(7)
	v_alignbit_b32 v88, v14, v14, 16
.LBB0_5:
	s_or_b32 exec_lo, exec_lo, s4
	s_waitcnt lgkmcnt(0)
	v_pk_add_f16 v14, v9, v16 neg_lo:[0,1] neg_hi:[0,1]
	v_mov_b32_e32 v80, 0xb5c8
	v_pk_add_f16 v19, v16, v9
	v_pk_add_f16 v17, v1, v88 op_sel:[1,0] op_sel_hi:[0,1]
	v_pk_add_f16 v22, v88, v1 op_sel:[1,0] op_sel_hi:[0,1] neg_lo:[0,1] neg_hi:[0,1]
	v_mov_b32_e32 v87, 0xb964
	v_mul_f16_sdwa v41, v14, v80 dst_sel:DWORD dst_unused:UNUSED_PAD src0_sel:WORD_1 src1_sel:DWORD
	v_lshrrev_b32_e32 v35, 16, v19
	v_mul_f16_e32 v50, 0xb964, v14
	v_lshrrev_b32_e32 v33, 16, v17
	v_mul_f16_sdwa v44, v22, v87 dst_sel:DWORD dst_unused:UNUSED_PAD src0_sel:WORD_1 src1_sel:DWORD
	v_fmamk_f16 v20, v19, 0x3b76, v41
	v_pk_add_f16 v18, v15, v0 neg_lo:[0,1] neg_hi:[0,1]
	v_mov_b32_e32 v72, 0xbb29
	v_fma_f16 v21, v35, 0x39e9, -v50
	v_fmamk_f16 v25, v33, 0x39e9, v44
	v_add_f16_e32 v23, v20, v8
	v_mul_f16_e32 v51, 0xbbf7, v22
	v_pk_add_f16 v20, v0, v15
	v_mul_f16_sdwa v45, v18, v72 dst_sel:DWORD dst_unused:UNUSED_PAD src0_sel:WORD_1 src1_sel:DWORD
	v_add_f16_sdwa v26, v21, v8 dst_sel:DWORD dst_unused:UNUSED_PAD src0_sel:DWORD src1_sel:WORD_1
	v_add_f16_e32 v25, v25, v23
	v_fma_f16 v27, v17, 0x2de8, -v51
	v_pk_add_f16 v21, v12, v3 neg_lo:[0,1] neg_hi:[0,1]
	v_mov_b32_e32 v81, 0xbbf7
	v_fmamk_f16 v28, v20, 0x3722, v45
	v_lshrrev_b32_e32 v37, 16, v20
	v_mul_f16_e32 v52, 0xba62, v18
	v_pk_add_f16 v23, v3, v12
	v_mul_f16_sdwa v46, v21, v81 dst_sel:DWORD dst_unused:UNUSED_PAD src0_sel:WORD_1 src1_sel:DWORD
	v_add_f16_e32 v27, v27, v26
	v_add_f16_e32 v28, v28, v25
	v_fma_f16 v29, v37, 0xb8d2, -v52
	v_lshrrev_b32_e32 v34, 16, v23
	v_mul_f16_e32 v53, 0xb1e1, v21
	v_pk_add_f16 v25, v13, v2 neg_lo:[0,1] neg_hi:[0,1]
	v_mov_b32_e32 v84, 0xbbb2
	v_fmamk_f16 v30, v23, 0x2de8, v46
	v_pk_add_f16 v26, v2, v13
	v_add_f16_e32 v29, v29, v27
	v_fma_f16 v31, v34, 0xbbdd, -v53
	v_mul_f16_sdwa v47, v25, v84 dst_sel:DWORD dst_unused:UNUSED_PAD src0_sel:WORD_1 src1_sel:DWORD
	v_pk_add_f16 v27, v10, v5 neg_lo:[0,1] neg_hi:[0,1]
	v_mov_b32_e32 v83, 0xba62
	v_add_f16_e32 v30, v30, v28
	v_lshrrev_b32_e32 v36, 16, v26
	v_mul_f16_e32 v54, 0x3836, v25
	v_pk_add_f16 v28, v5, v10
	v_add_f16_e32 v31, v31, v29
	v_fmamk_f16 v29, v26, 0xb461, v47
	v_mul_f16_sdwa v49, v27, v83 dst_sel:DWORD dst_unused:UNUSED_PAD src0_sel:WORD_1 src1_sel:DWORD
	v_fma_f16 v32, v36, 0xbacd, -v54
	v_lshrrev_b32_e32 v38, 16, v28
	v_mul_f16_e32 v55, 0x3bb2, v27
	v_add_f16_e32 v39, v29, v30
	v_fmamk_f16 v40, v28, 0xb8d2, v49
	v_pk_add_f16 v29, v11, v4 neg_lo:[0,1] neg_hi:[0,1]
	v_mov_b32_e32 v82, 0xb836
	v_pk_add_f16 v30, v4, v11
	v_add_f16_e32 v42, v32, v31
	v_fma_f16 v43, v38, 0xb461, -v55
	v_add_f16_e32 v57, v40, v39
	v_mul_f16_sdwa v48, v29, v82 dst_sel:DWORD dst_unused:UNUSED_PAD src0_sel:WORD_1 src1_sel:DWORD
	v_lshrrev_b32_e32 v39, 16, v30
	v_mul_f16_e32 v56, 0x3b29, v29
	v_add_f16_e32 v42, v43, v42
	v_pk_mul_f16 v59, 0x3b7639e9, v19
	v_fmamk_f16 v43, v30, 0xbacd, v48
	v_pk_mul_f16 v60, 0xbbf7b964, v22
	v_fma_f16 v58, v39, 0x3722, -v56
	v_pk_mul_f16 v62, 0x3722b8d2, v20
	v_pk_mul_f16 v70, 0x2de8bbdd, v23
	v_add_f16_e32 v43, v43, v57
	v_pk_fma_f16 v57, 0xb964b5c8, v14, v59 op_sel:[0,0,1] op_sel_hi:[1,1,0] neg_lo:[0,1,0] neg_hi:[0,1,0]
	v_add_f16_e32 v42, v58, v42
	v_pk_fma_f16 v58, 0xb964b5c8, v14, v59 op_sel:[0,0,1] op_sel_hi:[1,1,0]
	v_pk_fma_f16 v59, 0x2de839e9, v17, v60 neg_lo:[0,0,1] neg_hi:[0,0,1]
	v_pk_fma_f16 v60, 0x2de839e9, v17, v60
	v_add_f16_sdwa v67, v57, v8 dst_sel:DWORD dst_unused:UNUSED_PAD src0_sel:DWORD src1_sel:WORD_1
	v_pk_fma_f16 v65, 0xba62bb29, v18, v62 op_sel:[0,0,1] op_sel_hi:[1,1,0] neg_lo:[0,1,0] neg_hi:[0,1,0]
	v_add_f16_sdwa v71, v58, v8 dst_sel:DWORD dst_unused:UNUSED_PAD src0_sel:WORD_1 src1_sel:DWORD
	v_pk_fma_f16 v68, 0xba62bb29, v18, v62 op_sel:[0,0,1] op_sel_hi:[1,1,0]
	v_pk_fma_f16 v69, 0xb1e1bbf7, v21, v70 op_sel:[0,0,1] op_sel_hi:[1,1,0] neg_lo:[0,1,0] neg_hi:[0,1,0]
	v_add_f16_e32 v62, v59, v67
	v_pk_mul_f16 v67, 0xb461bacd, v26
	v_add_f16_sdwa v73, v60, v71 dst_sel:DWORD dst_unused:UNUSED_PAD src0_sel:WORD_1 src1_sel:DWORD
	v_pk_fma_f16 v70, 0xb1e1bbf7, v21, v70 op_sel:[0,0,1] op_sel_hi:[1,1,0]
	v_pk_mul_f16 v74, 0xb8d2b461, v28
	v_add_f16_e32 v62, v65, v62
	v_pk_fma_f16 v71, 0x3836bbb2, v25, v67 op_sel:[0,0,1] op_sel_hi:[1,1,0] neg_lo:[0,1,0] neg_hi:[0,1,0]
	v_add_f16_sdwa v75, v68, v73 dst_sel:DWORD dst_unused:UNUSED_PAD src0_sel:WORD_1 src1_sel:DWORD
	v_pk_fma_f16 v73, 0x3836bbb2, v25, v67 op_sel:[0,0,1] op_sel_hi:[1,1,0]
	v_pk_add_f16 v32, v7, v6
	v_add_f16_e32 v62, v69, v62
	v_pk_add_f16 v31, v6, v7 neg_lo:[0,1] neg_hi:[0,1]
	v_add_f16_sdwa v77, v70, v75 dst_sel:DWORD dst_unused:UNUSED_PAD src0_sel:WORD_1 src1_sel:DWORD
	v_pk_fma_f16 v67, 0x3bb2ba62, v27, v74 op_sel:[0,0,1] op_sel_hi:[1,1,0] neg_lo:[0,1,0] neg_hi:[0,1,0]
	v_pk_mul_f16 v76, 0xbacd3722, v30
	v_mov_b32_e32 v86, 0xb1e1
	v_add_f16_e32 v62, v71, v62
	v_pk_fma_f16 v74, 0x3bb2ba62, v27, v74 op_sel:[0,0,1] op_sel_hi:[1,1,0]
	v_add_f16_sdwa v77, v73, v77 dst_sel:DWORD dst_unused:UNUSED_PAD src0_sel:WORD_1 src1_sel:DWORD
	v_lshrrev_b32_e32 v40, 16, v32
	v_mul_f16_e32 v66, 0x35c8, v31
	v_pk_fma_f16 v75, 0x3b29b836, v29, v76 op_sel:[0,0,1] op_sel_hi:[1,1,0] neg_lo:[0,1,0] neg_hi:[0,1,0]
	v_mul_f16_sdwa v79, v31, v86 dst_sel:DWORD dst_unused:UNUSED_PAD src0_sel:WORD_1 src1_sel:DWORD
	v_add_f16_e32 v62, v67, v62
	v_pk_mul_f16 v85, 0xbbdd3b76, v32
	v_pk_fma_f16 v78, 0x3b29b836, v29, v76 op_sel:[0,0,1] op_sel_hi:[1,1,0]
	v_add_f16_sdwa v89, v74, v77 dst_sel:DWORD dst_unused:UNUSED_PAD src0_sel:WORD_1 src1_sel:DWORD
	v_fma_f16 v61, v40, 0x3b76, -v66
	v_fmamk_f16 v90, v32, 0xbbdd, v79
	v_add_f16_e32 v62, v75, v62
	v_pk_fma_f16 v76, 0x35c8b1e1, v31, v85 op_sel:[0,0,1] op_sel_hi:[1,1,0] neg_lo:[0,1,0] neg_hi:[0,1,0]
	v_pk_fma_f16 v77, 0x35c8b1e1, v31, v85 op_sel:[0,0,1] op_sel_hi:[1,1,0]
	v_add_f16_sdwa v85, v78, v89 dst_sel:DWORD dst_unused:UNUSED_PAD src0_sel:WORD_1 src1_sel:DWORD
	v_add_f16_e32 v61, v61, v42
	v_add_f16_e32 v43, v90, v43
	;; [unrolled: 1-line block ×3, first 2 shown]
	v_add_f16_sdwa v42, v77, v85 dst_sel:DWORD dst_unused:UNUSED_PAD src0_sel:WORD_1 src1_sel:DWORD
	s_barrier
	buffer_gl0_inv
	s_and_saveexec_b32 s4, vcc_lo
	s_cbranch_execz .LBB0_7
; %bb.6:
	v_mul_f16_e32 v91, 0x3722, v35
	v_mul_f16_e32 v92, 0xb8d2, v17
	;; [unrolled: 1-line block ×3, first 2 shown]
	v_alignbit_b32 v85, v8, v8, 16
	v_mul_f16_e32 v96, 0xb461, v34
	v_fmamk_f16 v89, v14, 0x3b29, v91
	v_fmamk_f16 v90, v22, 0x3a62, v92
	;; [unrolled: 1-line block ×3, first 2 shown]
	v_alignbit_b32 v88, v88, v88, 16
	v_mul_f16_sdwa v93, v14, v72 dst_sel:DWORD dst_unused:UNUSED_PAD src0_sel:WORD_1 src1_sel:DWORD
	v_add_f16_sdwa v89, v89, v8 dst_sel:DWORD dst_unused:UNUSED_PAD src0_sel:DWORD src1_sel:WORD_1
	v_mul_f16_e32 v97, 0x39e9, v36
	v_pk_add_f16 v9, v9, v85 op_sel:[0,1] op_sel_hi:[1,0]
	v_mul_f16_sdwa v94, v22, v83 dst_sel:DWORD dst_unused:UNUSED_PAD src0_sel:WORD_1 src1_sel:DWORD
	v_mov_b32_e32 v98, 0x31e1
	v_add_f16_e32 v89, v90, v89
	v_fmamk_f16 v90, v21, 0xbbb2, v96
	v_mul_f16_e32 v99, 0x3b76, v38
	v_pk_add_f16 v9, v88, v9
	v_fmamk_f16 v103, v25, 0xb964, v97
	v_add_f16_e32 v89, v100, v89
	v_fmamk_f16 v100, v19, 0x3722, v93
	v_mul_f16_e32 v101, 0x2de8, v39
	v_mov_b32_e32 v102, 0x3bb2
	v_fmamk_f16 v88, v33, 0xb8d2, v94
	v_add_f16_e32 v89, v90, v89
	v_mul_f16_sdwa v98, v18, v98 dst_sel:DWORD dst_unused:UNUSED_PAD src0_sel:WORD_1 src1_sel:DWORD
	v_pk_add_f16 v9, v15, v9
	v_fmamk_f16 v15, v27, 0x35c8, v99
	v_add_f16_e32 v90, v100, v8
	v_add_f16_e32 v89, v103, v89
	v_mul_f16_sdwa v100, v21, v102 dst_sel:DWORD dst_unused:UNUSED_PAD src0_sel:WORD_1 src1_sel:DWORD
	v_pk_add_f16 v9, v12, v9
	v_fmamk_f16 v12, v20, 0xbbdd, v98
	v_add_f16_e32 v88, v88, v90
	v_add_f16_e32 v89, v15, v89
	v_fmamk_f16 v90, v29, 0x3bf7, v101
	v_mul_f16_e32 v103, 0xb8d2, v35
	v_mov_b32_e32 v104, 0x3964
	v_pk_add_f16 v15, v13, v9
	v_add_f16_e32 v9, v12, v88
	v_fmamk_f16 v12, v23, 0xb461, v100
	v_add_f16_e32 v13, v90, v89
	v_fmamk_f16 v88, v14, 0x3a62, v103
	v_mul_f16_e32 v89, 0xb461, v17
	v_mul_f16_sdwa v106, v25, v104 dst_sel:DWORD dst_unused:UNUSED_PAD src0_sel:WORD_1 src1_sel:DWORD
	v_add_f16_e32 v9, v12, v9
	v_mul_f16_e32 v90, 0x3b76, v37
	v_add_f16_sdwa v12, v88, v8 dst_sel:DWORD dst_unused:UNUSED_PAD src0_sel:DWORD src1_sel:WORD_1
	v_fmamk_f16 v88, v22, 0xbbb2, v89
	v_fmamk_f16 v108, v26, 0x39e9, v106
	v_mul_f16_sdwa v109, v27, v80 dst_sel:DWORD dst_unused:UNUSED_PAD src0_sel:WORD_1 src1_sel:DWORD
	v_mul_f16_e32 v105, 0xbacd, v40
	v_mul_f16_e32 v110, 0xbacd, v34
	v_add_f16_e32 v12, v88, v12
	v_fmamk_f16 v88, v18, 0x35c8, v90
	v_add_f16_e32 v9, v108, v9
	v_fmamk_f16 v108, v28, 0x3b76, v109
	v_mul_f16_sdwa v111, v29, v81 dst_sel:DWORD dst_unused:UNUSED_PAD src0_sel:WORD_1 src1_sel:DWORD
	v_fmamk_f16 v107, v31, 0x3836, v105
	v_add_f16_e32 v12, v88, v12
	v_fmamk_f16 v88, v21, 0x3836, v110
	v_mul_f16_e32 v112, 0x2de8, v36
	v_add_f16_e32 v108, v108, v9
	v_fmamk_f16 v113, v30, 0x2de8, v111
	v_add_f16_e32 v9, v107, v13
	v_add_f16_e32 v12, v88, v12
	v_fmamk_f16 v13, v25, 0xbbf7, v112
	v_mul_f16_e32 v107, 0x39e9, v38
	v_add_f16_e32 v88, v113, v108
	v_mul_f16_sdwa v108, v14, v83 dst_sel:DWORD dst_unused:UNUSED_PAD src0_sel:WORD_1 src1_sel:DWORD
	v_mul_f16_sdwa v113, v31, v82 dst_sel:DWORD dst_unused:UNUSED_PAD src0_sel:WORD_1 src1_sel:DWORD
	v_add_f16_e32 v12, v13, v12
	v_fmamk_f16 v13, v27, 0x3964, v107
	v_mul_f16_e32 v114, 0xbbdd, v39
	v_fmamk_f16 v115, v19, 0xb8d2, v108
	v_mul_f16_sdwa v116, v22, v102 dst_sel:DWORD dst_unused:UNUSED_PAD src0_sel:WORD_1 src1_sel:DWORD
	v_fmamk_f16 v117, v32, 0xbacd, v113
	v_add_f16_e32 v13, v13, v12
	v_fmamk_f16 v118, v29, 0x31e1, v114
	v_add_f16_e32 v115, v115, v8
	v_fmamk_f16 v119, v33, 0xb461, v116
	v_mul_f16_sdwa v120, v18, v80 dst_sel:DWORD dst_unused:UNUSED_PAD src0_sel:WORD_1 src1_sel:DWORD
	v_add_f16_e32 v12, v117, v88
	v_mul_f16_e32 v117, 0x3722, v40
	v_add_f16_e32 v13, v118, v13
	v_add_f16_e32 v88, v119, v115
	v_fmamk_f16 v115, v20, 0x3b76, v120
	v_mul_f16_sdwa v118, v21, v82 dst_sel:DWORD dst_unused:UNUSED_PAD src0_sel:WORD_1 src1_sel:DWORD
	v_mov_b32_e32 v119, 0x3bf7
	v_fmamk_f16 v121, v31, 0xbb29, v117
	v_mul_f16_e32 v122, 0xb836, v14
	v_fmac_f16_e32 v91, 0xbb29, v14
	v_add_f16_e32 v88, v115, v88
	v_fmamk_f16 v115, v23, 0xbacd, v118
	v_mul_f16_sdwa v123, v25, v119 dst_sel:DWORD dst_unused:UNUSED_PAD src0_sel:WORD_1 src1_sel:DWORD
	v_add_f16_e32 v13, v121, v13
	v_fmamk_f16 v121, v35, 0xbacd, v122
	v_mul_f16_e32 v124, 0x3b29, v22
	v_add_f16_sdwa v91, v91, v8 dst_sel:DWORD dst_unused:UNUSED_PAD src0_sel:DWORD src1_sel:WORD_1
	v_fmac_f16_e32 v92, 0xba62, v22
	v_add_f16_e32 v88, v115, v88
	v_fmamk_f16 v115, v26, 0x2de8, v123
	v_mul_f16_sdwa v125, v27, v87 dst_sel:DWORD dst_unused:UNUSED_PAD src0_sel:WORD_1 src1_sel:DWORD
	v_add_f16_sdwa v87, v121, v8 dst_sel:DWORD dst_unused:UNUSED_PAD src0_sel:DWORD src1_sel:WORD_1
	v_fmamk_f16 v121, v17, 0x3722, v124
	v_mul_f16_e32 v126, 0xbbf7, v18
	v_add_f16_e32 v91, v92, v91
	v_fmac_f16_e32 v95, 0x31e1, v18
	v_add_f16_e32 v88, v115, v88
	v_fmamk_f16 v115, v28, 0x39e9, v125
	v_mul_f16_sdwa v127, v29, v86 dst_sel:DWORD dst_unused:UNUSED_PAD src0_sel:WORD_1 src1_sel:DWORD
	v_add_f16_e32 v87, v121, v87
	v_fmamk_f16 v121, v37, 0x2de8, v126
	v_mul_f16_e32 v128, 0x3a62, v21
	v_add_f16_e32 v91, v95, v91
	v_fmac_f16_e32 v96, 0x3bb2, v21
	v_add_f16_e32 v88, v115, v88
	v_fmamk_f16 v115, v30, 0xbbdd, v127
	v_mov_b32_e32 v129, 0x3b29
	v_add_f16_e32 v87, v121, v87
	v_fmamk_f16 v121, v34, 0xb8d2, v128
	v_mul_f16_e32 v130, 0xb5c8, v25
	v_mul_f16_sdwa v131, v14, v82 dst_sel:DWORD dst_unused:UNUSED_PAD src0_sel:WORD_1 src1_sel:DWORD
	v_add_f16_e32 v91, v96, v91
	v_fmac_f16_e32 v97, 0x3964, v25
	v_add_f16_e32 v88, v115, v88
	v_mul_f16_sdwa v115, v31, v129 dst_sel:DWORD dst_unused:UNUSED_PAD src0_sel:WORD_1 src1_sel:DWORD
	v_add_f16_e32 v87, v121, v87
	v_fmamk_f16 v121, v36, 0x3b76, v130
	v_mul_f16_e32 v132, 0xb1e1, v27
	v_fma_f16 v134, v19, 0xbacd, -v131
	v_mul_f16_sdwa v129, v22, v129 dst_sel:DWORD dst_unused:UNUSED_PAD src0_sel:WORD_1 src1_sel:DWORD
	v_fmac_f16_e32 v103, 0xba62, v14
	v_add_f16_e32 v91, v97, v91
	v_fmac_f16_e32 v99, 0xb5c8, v27
	v_mul_f16_e32 v97, 0x39e9, v35
	v_add_f16_e32 v87, v121, v87
	v_fmamk_f16 v121, v38, 0xbbdd, v132
	v_mul_f16_e32 v135, 0x3964, v29
	v_add_f16_e32 v134, v134, v8
	v_fma_f16 v136, v33, 0x3722, -v129
	v_mul_f16_sdwa v137, v18, v81 dst_sel:DWORD dst_unused:UNUSED_PAD src0_sel:WORD_1 src1_sel:DWORD
	v_mov_b32_e32 v138, 0x3a62
	v_add_f16_sdwa v103, v103, v8 dst_sel:DWORD dst_unused:UNUSED_PAD src0_sel:DWORD src1_sel:WORD_1
	v_fmac_f16_e32 v89, 0x3bb2, v22
	v_fma_f16 v93, v19, 0x3722, -v93
	v_add_f16_e32 v91, v99, v91
	v_mul_f16_e32 v99, 0x2de8, v17
	v_add_f16_e32 v50, v50, v97
	v_fmamk_f16 v133, v32, 0x3722, v115
	v_add_f16_e32 v121, v121, v87
	v_fmamk_f16 v139, v39, 0x39e9, v135
	v_add_f16_e32 v134, v136, v134
	v_fma_f16 v136, v20, 0x2de8, -v137
	v_mul_f16_sdwa v140, v21, v138 dst_sel:DWORD dst_unused:UNUSED_PAD src0_sel:WORD_1 src1_sel:DWORD
	v_add_f16_e32 v89, v89, v103
	v_fmac_f16_e32 v90, 0xb5c8, v18
	v_add_f16_e32 v93, v93, v8
	v_fma_f16 v94, v33, 0xb8d2, -v94
	v_add_f16_e32 v51, v51, v99
	v_add_f16_sdwa v50, v50, v8 dst_sel:DWORD dst_unused:UNUSED_PAD src0_sel:DWORD src1_sel:WORD_1
	v_mul_f16_e32 v97, 0xb8d2, v37
	v_add_f16_e32 v87, v133, v88
	v_add_f16_e32 v88, v139, v121
	;; [unrolled: 1-line block ×3, first 2 shown]
	v_fma_f16 v133, v23, 0xb8d2, -v140
	v_mul_f16_sdwa v134, v25, v80 dst_sel:DWORD dst_unused:UNUSED_PAD src0_sel:WORD_1 src1_sel:DWORD
	v_fma_f16 v108, v19, 0xb8d2, -v108
	v_add_f16_e32 v89, v90, v89
	v_fmac_f16_e32 v110, 0xb836, v21
	v_add_f16_e32 v93, v94, v93
	v_fma_f16 v94, v20, 0xbbdd, -v98
	v_add_f16_e32 v50, v51, v50
	v_add_f16_e32 v51, v52, v97
	v_mul_f16_e32 v52, 0xbbdd, v34
	v_add_f16_e32 v121, v133, v121
	v_fma_f16 v133, v26, 0x3b76, -v134
	v_mul_f16_sdwa v139, v27, v86 dst_sel:DWORD dst_unused:UNUSED_PAD src0_sel:WORD_1 src1_sel:DWORD
	v_add_f16_e32 v90, v108, v8
	v_fma_f16 v108, v33, 0xb461, -v116
	v_add_f16_e32 v89, v110, v89
	v_fmac_f16_e32 v112, 0x3bf7, v25
	v_add_f16_e32 v93, v94, v93
	v_fma_f16 v94, v23, 0xb461, -v100
	v_add_f16_e32 v50, v51, v50
	v_add_f16_e32 v51, v53, v52
	v_mul_f16_e32 v52, 0x3b76, v19
	v_mul_f16_e32 v136, 0xbbb2, v31
	v_add_f16_e32 v121, v133, v121
	v_fma_f16 v133, v28, 0xbbdd, -v139
	v_mul_f16_sdwa v141, v29, v104 dst_sel:DWORD dst_unused:UNUSED_PAD src0_sel:WORD_1 src1_sel:DWORD
	v_add_f16_e32 v90, v108, v90
	v_fma_f16 v108, v20, 0x3b76, -v120
	v_add_f16_e32 v89, v112, v89
	v_fmac_f16_e32 v107, 0xb964, v27
	v_add_f16_e32 v53, v94, v93
	v_mul_f16_e32 v93, 0xbacd, v36
	v_fma_f16 v94, v26, 0x39e9, -v106
	v_mul_f16_e32 v97, 0x39e9, v33
	v_sub_f16_e32 v41, v52, v41
	v_fmamk_f16 v103, v40, 0xb461, v136
	v_add_f16_e32 v116, v133, v121
	v_fma_f16 v110, v30, 0x39e9, -v141
	v_add_f16_e32 v90, v108, v90
	v_fma_f16 v108, v23, 0xbacd, -v118
	v_add_f16_e32 v89, v107, v89
	v_fmac_f16_e32 v114, 0xb1e1, v29
	v_mul_f16_e32 v107, 0xbbb2, v14
	v_add_f16_e32 v50, v51, v50
	v_add_f16_e32 v51, v54, v93
	;; [unrolled: 1-line block ×3, first 2 shown]
	v_sub_f16_e32 v44, v97, v44
	v_add_f16_e32 v41, v41, v8
	v_mul_f16_e32 v53, 0x3722, v20
	v_mul_f16_e32 v54, 0xb461, v38
	v_add_f16_e32 v88, v103, v88
	v_add_f16_e32 v103, v110, v116
	v_mul_f16_sdwa v110, v31, v84 dst_sel:DWORD dst_unused:UNUSED_PAD src0_sel:WORD_1 src1_sel:DWORD
	v_add_f16_e32 v90, v108, v90
	v_fma_f16 v108, v26, 0x2de8, -v123
	v_add_f16_e32 v114, v114, v89
	v_fmamk_f16 v89, v35, 0xb461, v107
	v_mul_f16_e32 v116, 0x3836, v22
	v_add_f16_e32 v50, v51, v50
	v_fma_f16 v51, v28, 0x3b76, -v109
	v_add_f16_e32 v41, v44, v41
	v_sub_f16_e32 v44, v53, v45
	v_add_f16_e32 v45, v55, v54
	v_mul_f16_e32 v53, 0x2de8, v23
	v_fma_f16 v112, v32, 0xb461, -v110
	v_add_f16_e32 v90, v108, v90
	v_fma_f16 v108, v28, 0x39e9, -v125
	v_fmac_f16_e32 v117, 0x3b29, v31
	v_add_f16_sdwa v118, v89, v8 dst_sel:DWORD dst_unused:UNUSED_PAD src0_sel:DWORD src1_sel:WORD_1
	v_fmamk_f16 v120, v17, 0xbacd, v116
	v_mul_f16_e32 v121, 0x3964, v18
	v_add_f16_e32 v51, v51, v52
	v_mul_f16_e32 v52, 0x3722, v39
	v_add_f16_e32 v41, v44, v41
	v_sub_f16_e32 v46, v53, v46
	v_add_f16_e32 v45, v45, v50
	v_mul_f16_e32 v50, 0xb461, v26
	v_add_f16_e32 v108, v108, v90
	v_fma_f16 v123, v30, 0xbbdd, -v127
	v_add_f16_e32 v89, v112, v103
	v_add_f16_e32 v103, v120, v118
	v_fmamk_f16 v112, v37, 0x39e9, v121
	v_add_f16_e32 v90, v117, v114
	v_mul_f16_e32 v114, 0xbb29, v21
	v_add_f16_e32 v52, v56, v52
	v_add_f16_e32 v41, v46, v41
	v_mul_f16_e32 v46, 0x3b76, v40
	v_sub_f16_e32 v47, v50, v47
	v_mul_f16_e32 v50, 0xb8d2, v28
	v_add_f16_e32 v108, v123, v108
	v_fma_f16 v115, v32, 0x3722, -v115
	v_add_f16_e32 v103, v112, v103
	v_mul_f16_sdwa v112, v14, v84 dst_sel:DWORD dst_unused:UNUSED_PAD src0_sel:WORD_1 src1_sel:DWORD
	v_mov_b32_e32 v117, 0x3836
	v_fmamk_f16 v118, v34, 0x3722, v114
	v_mul_f16_e32 v120, 0xb1e1, v25
	v_add_f16_e32 v45, v52, v45
	v_add_f16_e32 v46, v66, v46
	;; [unrolled: 1-line block ×3, first 2 shown]
	v_sub_f16_e32 v47, v50, v49
	v_fma_f16 v49, v35, 0xbacd, -v122
	v_add_f16_e32 v84, v115, v108
	v_fma_f16 v108, v19, 0xb461, -v112
	v_mul_f16_sdwa v115, v22, v117 dst_sel:DWORD dst_unused:UNUSED_PAD src0_sel:WORD_1 src1_sel:DWORD
	v_add_f16_e32 v103, v118, v103
	v_fmamk_f16 v117, v36, 0xbbdd, v120
	v_mul_f16_e32 v118, 0x3bf7, v27
	v_add_f16_e32 v45, v46, v45
	v_add_f16_e32 v41, v47, v41
	v_add_f16_sdwa v46, v49, v8 dst_sel:DWORD dst_unused:UNUSED_PAD src0_sel:DWORD src1_sel:WORD_1
	v_fma_f16 v47, v17, 0x3722, -v124
	v_add_f16_e32 v108, v108, v8
	v_fma_f16 v123, v33, 0xbacd, -v115
	v_mul_f16_sdwa v125, v18, v104 dst_sel:DWORD dst_unused:UNUSED_PAD src0_sel:WORD_1 src1_sel:DWORD
	v_add_f16_e32 v103, v117, v103
	v_fmamk_f16 v117, v38, 0x2de8, v118
	v_mul_f16_e32 v127, 0xb5c8, v29
	v_fma_f16 v44, v30, 0x2de8, -v111
	v_add_f16_e32 v46, v47, v46
	v_fma_f16 v47, v37, 0x2de8, -v126
	v_add_f16_e32 v108, v123, v108
	v_fma_f16 v123, v20, 0x39e9, -v125
	v_mul_f16_sdwa v133, v21, v72 dst_sel:DWORD dst_unused:UNUSED_PAD src0_sel:WORD_1 src1_sel:DWORD
	v_add_f16_e32 v103, v117, v103
	v_fmamk_f16 v117, v39, 0x3b76, v127
	v_mul_f16_e32 v142, 0xbbf7, v14
	v_add_f16_e32 v44, v44, v51
	v_fma_f16 v51, v32, 0xbacd, -v113
	v_mul_f16_e32 v50, 0xbacd, v30
	v_bfi_b32 v49, 0xffff, v58, v57
	v_add_f16_e32 v46, v47, v46
	v_fma_f16 v47, v34, 0xb8d2, -v128
	v_fma_f16 v58, v35, 0xb461, -v107
	v_add_f16_e32 v108, v123, v108
	v_fma_f16 v123, v23, 0x3722, -v133
	v_mul_f16_sdwa v143, v25, v86 dst_sel:DWORD dst_unused:UNUSED_PAD src0_sel:WORD_1 src1_sel:DWORD
	v_add_f16_e32 v103, v117, v103
	v_fmamk_f16 v117, v35, 0x2de8, v142
	v_mul_f16_e32 v144, 0xb1e1, v22
	v_add_f16_e32 v44, v51, v44
	v_sub_f16_e32 v48, v50, v48
	v_bfi_b32 v50, 0xffff, v60, v59
	v_mul_f16_e32 v51, 0xbbdd, v32
	v_add_f16_e32 v46, v47, v46
	v_fma_f16 v47, v36, 0x3b76, -v130
	v_add_f16_sdwa v58, v58, v8 dst_sel:DWORD dst_unused:UNUSED_PAD src0_sel:DWORD src1_sel:WORD_1
	v_fma_f16 v59, v17, 0xbacd, -v116
	v_add_f16_e32 v108, v123, v108
	v_fma_f16 v123, v26, 0xbbdd, -v143
	v_mul_f16_sdwa v119, v27, v119 dst_sel:DWORD dst_unused:UNUSED_PAD src0_sel:WORD_1 src1_sel:DWORD
	v_add_f16_sdwa v117, v117, v8 dst_sel:DWORD dst_unused:UNUSED_PAD src0_sel:DWORD src1_sel:WORD_1
	v_fmamk_f16 v145, v17, 0xbbdd, v144
	v_mul_f16_e32 v146, 0x3bb2, v18
	v_add_f16_e32 v41, v48, v41
	v_sub_f16_e32 v48, v51, v79
	v_fmac_f16_e32 v131, 0xbacd, v19
	v_add_f16_e32 v46, v47, v46
	v_fma_f16 v47, v38, 0xbbdd, -v132
	v_add_f16_e32 v58, v59, v58
	v_fma_f16 v59, v37, 0x39e9, -v121
	v_fmac_f16_e32 v112, 0xb461, v19
	v_mul_f16_e32 v147, 0xba62, v31
	v_add_f16_e32 v108, v123, v108
	v_fma_f16 v123, v28, 0x2de8, -v119
	v_add_f16_e32 v117, v145, v117
	v_fmamk_f16 v145, v37, 0xb461, v146
	v_mul_f16_e32 v148, 0x35c8, v21
	v_add_f16_e32 v56, v131, v8
	v_fmac_f16_e32 v129, 0x3722, v33
	v_add_f16_e32 v46, v47, v46
	v_fma_f16 v47, v39, 0x39e9, -v135
	v_add_f16_e32 v41, v48, v41
	v_add_f16_e32 v48, v59, v58
	;; [unrolled: 1-line block ×3, first 2 shown]
	v_fmac_f16_e32 v115, 0xbacd, v33
	v_fmamk_f16 v149, v40, 0xb8d2, v147
	v_mul_f16_sdwa v80, v29, v80 dst_sel:DWORD dst_unused:UNUSED_PAD src0_sel:WORD_1 src1_sel:DWORD
	v_add_f16_e32 v108, v123, v108
	v_add_f16_e32 v117, v145, v117
	v_fmamk_f16 v123, v34, 0x3b76, v148
	v_mul_f16_e32 v145, 0xbb29, v25
	v_mul_f16_sdwa v81, v14, v81 dst_sel:DWORD dst_unused:UNUSED_PAD src0_sel:WORD_1 src1_sel:DWORD
	v_add_f16_e32 v56, v129, v56
	v_fmac_f16_e32 v137, 0x2de8, v20
	v_add_f16_e32 v46, v47, v46
	v_fma_f16 v58, v40, 0xb461, -v136
	v_add_f16_e32 v59, v115, v59
	v_fmac_f16_e32 v125, 0x39e9, v20
	v_fma_f16 v35, v35, 0x2de8, -v142
	v_pk_add_f16 v10, v10, v15
	v_fma_f16 v150, v30, 0x3b76, -v80
	v_add_f16_e32 v103, v149, v103
	v_add_f16_e32 v117, v123, v117
	v_fmamk_f16 v123, v36, 0x3722, v145
	v_fma_f16 v149, v19, 0x2de8, -v81
	v_mul_f16_sdwa v86, v22, v86 dst_sel:DWORD dst_unused:UNUSED_PAD src0_sel:WORD_1 src1_sel:DWORD
	v_add_f16_e32 v56, v137, v56
	v_fmac_f16_e32 v140, 0xb8d2, v23
	v_add_f16_e32 v46, v58, v46
	v_add_f16_e32 v58, v125, v59
	v_add_f16_sdwa v35, v35, v8 dst_sel:DWORD dst_unused:UNUSED_PAD src0_sel:DWORD src1_sel:WORD_1
	v_fma_f16 v59, v17, 0xbbdd, -v144
	v_fmac_f16_e32 v81, 0x2de8, v19
	v_pk_add_f16 v10, v11, v10
	v_add_f16_e32 v108, v150, v108
	v_add_f16_e32 v117, v123, v117
	v_mul_f16_e32 v123, 0xb836, v27
	v_add_f16_e32 v149, v149, v8
	v_fma_f16 v150, v33, 0xbbdd, -v86
	v_mul_f16_sdwa v102, v18, v102 dst_sel:DWORD dst_unused:UNUSED_PAD src0_sel:WORD_1 src1_sel:DWORD
	v_mov_b32_e32 v151, 0x35c8
	v_add_f16_e32 v47, v140, v56
	v_fma_f16 v56, v34, 0x3722, -v114
	v_add_f16_e32 v35, v59, v35
	v_fma_f16 v37, v37, 0xb461, -v146
	v_add_f16_e32 v8, v81, v8
	v_fmac_f16_e32 v86, 0xbbdd, v33
	v_pk_add_f16 v6, v6, v10
	v_fmamk_f16 v152, v38, 0xbacd, v123
	v_add_f16_e32 v149, v150, v149
	v_fma_f16 v150, v20, 0xb461, -v102
	v_mul_f16_sdwa v151, v21, v151 dst_sel:DWORD dst_unused:UNUSED_PAD src0_sel:WORD_1 src1_sel:DWORD
	v_add_f16_e32 v48, v56, v48
	v_fma_f16 v56, v36, 0xbbdd, -v120
	v_add_f16_e32 v15, v37, v35
	v_fma_f16 v33, v34, 0x3b76, -v148
	v_add_f16_e32 v8, v86, v8
	v_fmac_f16_e32 v102, 0xb461, v20
	v_pk_add_f16 v6, v7, v6
	v_add_f16_e32 v117, v152, v117
	v_mul_f16_e32 v152, 0x3a62, v29
	v_add_f16_e32 v149, v150, v149
	v_fma_f16 v150, v23, 0x3b76, -v151
	v_mul_f16_sdwa v72, v25, v72 dst_sel:DWORD dst_unused:UNUSED_PAD src0_sel:WORD_1 src1_sel:DWORD
	v_add_f16_e32 v48, v56, v48
	v_fma_f16 v56, v38, 0x2de8, -v118
	v_add_f16_e32 v15, v33, v15
	v_fma_f16 v33, v36, 0x3722, -v145
	v_add_f16_e32 v8, v102, v8
	v_fmac_f16_e32 v151, 0x3b76, v23
	v_pk_add_f16 v4, v4, v6
	v_fmamk_f16 v154, v39, 0xb8d2, v152
	v_add_f16_e32 v149, v150, v149
	v_fma_f16 v150, v26, 0x3722, -v72
	v_mul_f16_sdwa v82, v27, v82 dst_sel:DWORD dst_unused:UNUSED_PAD src0_sel:WORD_1 src1_sel:DWORD
	v_add_f16_e32 v48, v56, v48
	v_fma_f16 v56, v39, 0x3b76, -v127
	v_fmac_f16_e32 v133, 0x3722, v23
	v_add_f16_e32 v10, v33, v15
	v_fma_f16 v7, v38, 0xbacd, -v123
	v_add_f16_e32 v8, v151, v8
	v_fmac_f16_e32 v72, 0x3722, v26
	v_pk_add_f16 v4, v5, v4
	v_add_f16_e32 v92, v154, v117
	v_add_f16_e32 v117, v150, v149
	v_fma_f16 v149, v28, 0xbacd, -v82
	v_mul_f16_sdwa v138, v29, v138 dst_sel:DWORD dst_unused:UNUSED_PAD src0_sel:WORD_1 src1_sel:DWORD
	v_mul_f16_e32 v95, 0x3964, v31
	v_add_f16_e32 v48, v56, v48
	v_fma_f16 v56, v40, 0xb8d2, -v147
	v_add_f16_e32 v58, v133, v58
	v_fmac_f16_e32 v143, 0xbbdd, v26
	v_add_f16_e32 v6, v7, v10
	v_fma_f16 v7, v39, 0xb8d2, -v152
	v_add_f16_e32 v8, v72, v8
	v_fmac_f16_e32 v82, 0xbacd, v28
	v_pk_add_f16 v2, v2, v4
	v_pk_add_f16 v4, v49, v85
	v_add_f16_e32 v117, v149, v117
	v_fma_f16 v149, v30, 0xb8d2, -v138
	v_bfi_b32 v52, 0xffff, v68, v65
	v_add_f16_e32 v48, v56, v48
	v_add_f16_e32 v56, v143, v58
	v_fmac_f16_e32 v119, 0x2de8, v28
	v_add_f16_e32 v5, v7, v6
	v_fma_f16 v6, v40, 0x39e9, -v95
	v_add_f16_e32 v7, v82, v8
	v_fmac_f16_e32 v138, 0xb8d2, v30
	v_pk_add_f16 v2, v3, v2
	v_pk_add_f16 v4, v50, v4
	v_mul_f16_sdwa v83, v31, v83 dst_sel:DWORD dst_unused:UNUSED_PAD src0_sel:WORD_1 src1_sel:DWORD
	v_bfi_b32 v53, 0xffff, v70, v69
	v_add_f16_e32 v11, v119, v56
	v_fmac_f16_e32 v80, 0x3b76, v30
	v_add_f16_e32 v5, v6, v5
	v_add_f16_e32 v3, v138, v7
	v_mul_lo_u16 v6, v64, 17
	v_pk_add_f16 v0, v0, v2
	v_mov_b32_e32 v2, 2
	v_pk_add_f16 v4, v52, v4
	v_pk_mul_f16 v7, 0xbbdd, v19 op_sel_hi:[0,1]
	v_fma_f16 v153, v32, 0xb8d2, -v83
	v_add_f16_e32 v11, v80, v11
	v_fmac_f16_e32 v83, 0xb8d2, v32
	v_pk_add_f16 v0, v1, v0
	v_lshlrev_b32_sdwa v1, v2, v6 dst_sel:DWORD dst_unused:UNUSED_PAD src0_sel:DWORD src1_sel:WORD_0
	v_pk_add_f16 v2, v53, v4
	v_pk_fma_f16 v4, 0xb1e1, v14, v7 op_sel:[0,0,1] op_sel_hi:[0,1,0] neg_lo:[0,1,0] neg_hi:[0,1,0]
	v_pk_mul_f16 v6, 0x35c8, v22 op_sel_hi:[0,1]
	v_pk_fma_f16 v7, 0xb1e1, v14, v7 op_sel:[0,0,1] op_sel_hi:[0,1,0]
	v_add_f16_e32 v8, v83, v11
	v_pk_mul_f16 v11, 0xbacd, v20 op_sel_hi:[0,1]
	v_pk_add_f16 v4, v4, v85
	v_pk_fma_f16 v10, 0x3b76, v17, v6 op_sel_hi:[0,1,1] neg_lo:[0,0,1] neg_hi:[0,0,1]
	v_pk_add_f16 v7, v7, v85
	v_pk_fma_f16 v6, 0x3b76, v17, v6 op_sel_hi:[0,1,1]
	v_pk_mul_f16 v14, 0x39e9, v23 op_sel_hi:[0,1]
	v_bfi_b32 v51, 0xffff, v73, v71
	v_pk_add_f16 v4, v10, v4
	v_pk_fma_f16 v10, 0xb836, v18, v11 op_sel:[0,0,1] op_sel_hi:[0,1,0] neg_lo:[0,1,0] neg_hi:[0,1,0]
	v_pk_add_f16 v6, v6, v7
	v_pk_fma_f16 v7, 0xb836, v18, v11 op_sel:[0,0,1] op_sel_hi:[0,1,0]
	v_pk_mul_f16 v11, 0xb8d2, v26 op_sel_hi:[0,1]
	v_bfi_b32 v54, 0xffff, v74, v67
	v_pk_add_f16 v4, v10, v4
	v_pk_fma_f16 v10, 0x3964, v21, v14 op_sel:[0,0,1] op_sel_hi:[0,1,0] neg_lo:[0,1,0] neg_hi:[0,1,0]
	v_pk_add_f16 v6, v7, v6
	v_pk_fma_f16 v7, 0x3964, v21, v14 op_sel:[0,0,1] op_sel_hi:[0,1,0]
	v_pk_add_f16 v2, v51, v2
	v_pk_mul_f16 v14, 0x3722, v28 op_sel_hi:[0,1]
	v_pk_add_f16 v4, v10, v4
	v_pk_fma_f16 v10, 0xba62, v25, v11 op_sel:[0,0,1] op_sel_hi:[0,1,0] neg_lo:[0,1,0] neg_hi:[0,1,0]
	v_pk_add_f16 v6, v7, v6
	v_pk_fma_f16 v7, 0xba62, v25, v11 op_sel:[0,0,1] op_sel_hi:[0,1,0]
	v_fmac_f16_e32 v134, 0x3b76, v26
	v_bfi_b32 v55, 0xffff, v78, v75
	v_pk_add_f16 v2, v54, v2
	v_pk_add_f16 v4, v10, v4
	v_pk_fma_f16 v10, 0x3b29, v27, v14 op_sel:[0,0,1] op_sel_hi:[0,1,0] neg_lo:[0,1,0] neg_hi:[0,1,0]
	v_pk_mul_f16 v15, 0xb461, v30 op_sel_hi:[0,1]
	v_pk_add_f16 v6, v7, v6
	v_pk_fma_f16 v7, 0x3b29, v27, v14 op_sel:[0,0,1] op_sel_hi:[0,1,0]
	v_mul_f16_sdwa v104, v31, v104 dst_sel:DWORD dst_unused:UNUSED_PAD src0_sel:WORD_1 src1_sel:DWORD
	v_fmac_f16_e32 v101, 0xbbf7, v29
	v_add_f16_e32 v47, v134, v47
	v_fmac_f16_e32 v139, 0xbbdd, v28
	v_bfi_b32 v57, 0xffff, v77, v76
	v_pk_add_f16 v2, v55, v2
	v_pk_add_f16 v4, v10, v4
	v_pk_fma_f16 v10, 0xbbb2, v29, v15 op_sel:[0,0,1] op_sel_hi:[0,1,0] neg_lo:[0,1,0] neg_hi:[0,1,0]
	v_pk_mul_f16 v14, 0x2de8, v32 op_sel_hi:[0,1]
	v_pk_add_f16 v6, v7, v6
	v_pk_fma_f16 v7, 0xbbb2, v29, v15 op_sel:[0,0,1] op_sel_hi:[0,1,0]
	v_fmamk_f16 v96, v40, 0x39e9, v95
	v_add_f16_e32 v117, v149, v117
	v_fma_f16 v149, v32, 0x39e9, -v104
	v_add_f16_e32 v91, v101, v91
	v_fmac_f16_e32 v105, 0xb836, v31
	v_add_f16_e32 v47, v139, v47
	v_fmac_f16_e32 v141, 0x39e9, v30
	v_pk_add_f16 v2, v57, v2
	v_pk_add_f16 v4, v10, v4
	v_pk_fma_f16 v10, 0x3bf7, v31, v14 op_sel:[0,0,1] op_sel_hi:[0,1,0] neg_lo:[0,1,0] neg_hi:[0,1,0]
	v_pk_add_f16 v6, v7, v6
	v_pk_fma_f16 v7, 0x3bf7, v31, v14 op_sel:[0,0,1] op_sel_hi:[0,1,0]
	v_add_f16_e32 v92, v96, v92
	v_add_f16_e32 v96, v149, v117
	;; [unrolled: 1-line block ×4, first 2 shown]
	v_fmac_f16_e32 v110, 0xb461, v32
	v_add_f16_e32 v108, v153, v108
	v_fmac_f16_e32 v104, 0x39e9, v32
	v_alignbit_b32 v11, v45, v2, 16
	v_pack_b32_f16 v2, v41, v2
	v_pk_add_f16 v4, v10, v4
	v_pk_add_f16 v6, v7, v6
	v_add_f16_e32 v47, v110, v47
	v_pk_add_f16 v0, v16, v0
	v_pack_b32_f16 v15, v96, v92
	v_pack_b32_f16 v16, v44, v91
	v_add_f16_e32 v3, v104, v3
	v_pack_b32_f16 v14, v84, v90
	v_pack_b32_f16 v17, v108, v103
	;; [unrolled: 1-line block ×3, first 2 shown]
	ds_write2_b32 v1, v2, v11 offset0:1 offset1:2
	ds_write2_b32 v1, v16, v15 offset0:3 offset1:4
	;; [unrolled: 1-line block ×3, first 2 shown]
	ds_write2_b32 v1, v0, v18 offset1:7
	v_alignbit_b32 v0, v4, v6, 16
	v_alignbit_b32 v2, v6, v4, 16
	v_pack_b32_f16 v4, v87, v13
	v_pack_b32_f16 v6, v47, v46
	;; [unrolled: 1-line block ×5, first 2 shown]
	v_perm_b32 v8, v61, v42, 0x5040100
	v_perm_b32 v9, v62, v43, 0x5040100
	ds_write2_b32 v1, v2, v0 offset0:8 offset1:9
	ds_write2_b32 v1, v6, v4 offset0:10 offset1:11
	;; [unrolled: 1-line block ×4, first 2 shown]
	ds_write_b32 v1, v9 offset:64
.LBB0_7:
	s_or_b32 exec_lo, exec_lo, s4
	v_and_b32_e32 v2, 0xff, v64
	v_add_co_u32 v3, null, 0x1dc, v64
	v_mov_b32_e32 v4, 0xf0f1
	v_add_nc_u16 v16, v64, 0x77
	v_mul_lo_u16 v0, 0xf1, v2
	v_add_co_u32 v8, null, 0x165, v64
	v_mul_u32_u24_sdwa v5, v3, v4 dst_sel:DWORD dst_unused:UNUSED_PAD src0_sel:WORD_0 src1_sel:DWORD
	v_and_b32_e32 v6, 0xff, v16
	v_lshrrev_b16 v17, 12, v0
	v_add_co_u32 v0, null, 0xee, v64
	v_lshrrev_b32_e32 v18, 20, v5
	v_mul_lo_u16 v7, 0xf1, v6
	v_mul_lo_u16 v5, v17, 17
	v_mul_u32_u24_sdwa v10, v0, v4 dst_sel:DWORD dst_unused:UNUSED_PAD src0_sel:WORD_0 src1_sel:DWORD
	v_mul_u32_u24_sdwa v4, v8, v4 dst_sel:DWORD dst_unused:UNUSED_PAD src0_sel:WORD_0 src1_sel:DWORD
	v_mul_lo_u16 v9, v18, 17
	v_lshrrev_b16 v19, 12, v7
	v_sub_nc_u16 v5, v64, v5
	v_lshrrev_b32_e32 v22, 20, v10
	v_lshrrev_b32_e32 v23, 20, v4
	v_sub_nc_u16 v20, v3, v9
	v_mul_lo_u16 v3, v19, 17
	v_mov_b32_e32 v1, 2
	v_mul_lo_u16 v7, v22, 17
	v_and_b32_e32 v21, 0xff, v5
	v_lshlrev_b16 v4, 1, v20
	v_sub_nc_u16 v3, v16, v3
	v_mul_lo_u16 v9, v23, 17
	v_sub_nc_u16 v35, v0, v7
	v_lshlrev_b32_e32 v5, 3, v21
	v_lshlrev_b32_sdwa v4, v1, v4 dst_sel:DWORD dst_unused:UNUSED_PAD src0_sel:DWORD src1_sel:WORD_0
	v_and_b32_e32 v36, 0xff, v3
	v_sub_nc_u16 v37, v8, v9
	v_lshlrev_b16 v3, 1, v35
	s_load_dwordx4 s[4:7], s[0:1], 0x0
	s_waitcnt lgkmcnt(0)
	s_barrier
	buffer_gl0_inv
	s_clause 0x1
	global_load_dwordx2 v[33:34], v5, s[2:3]
	global_load_dwordx2 v[25:26], v4, s[2:3]
	v_lshlrev_b32_e32 v4, 3, v36
	v_lshlrev_b16 v5, 1, v37
	v_lshlrev_b32_sdwa v3, v1, v3 dst_sel:DWORD dst_unused:UNUSED_PAD src0_sel:DWORD src1_sel:WORD_0
	v_lshlrev_b32_sdwa v65, v1, v64 dst_sel:DWORD dst_unused:UNUSED_PAD src0_sel:DWORD src1_sel:WORD_0
	v_mul_lo_u16 v41, 0xa1, v6
	global_load_dwordx2 v[31:32], v4, s[2:3]
	v_lshlrev_b32_sdwa v4, v1, v5 dst_sel:DWORD dst_unused:UNUSED_PAD src0_sel:DWORD src1_sel:WORD_0
	s_clause 0x1
	global_load_dwordx2 v[29:30], v3, s[2:3]
	global_load_dwordx2 v[27:28], v4, s[2:3]
	v_mov_b32_e32 v3, 0xa0a1
	v_mul_lo_u16 v4, 0xa1, v2
	v_add_nc_u32_e32 v80, 0x600, v65
	v_add_nc_u32_e32 v79, 0x1200, v65
	;; [unrolled: 1-line block ×3, first 2 shown]
	v_mul_u32_u24_sdwa v5, v0, v3 dst_sel:DWORD dst_unused:UNUSED_PAD src0_sel:WORD_0 src1_sel:DWORD
	v_lshrrev_b16 v40, 13, v4
	v_add_nc_u32_e32 v101, 0x200, v65
	v_add_nc_u32_e32 v98, 0x1600, v65
	ds_read2_b32 v[2:3], v65 offset1:119
	v_add_nc_u32_e32 v100, 0xe00, v65
	ds_read_b32 v39, v65 offset:6664
	v_lshrrev_b32_e32 v44, 21, v5
	ds_read2_b32 v[4:5], v80 offset0:92 offset1:211
	ds_read2_b32 v[6:7], v79 offset0:38 offset1:157
	;; [unrolled: 1-line block ×6, first 2 shown]
	v_mov_b32_e32 v38, 51
	v_mul_lo_u16 v45, v40, 51
	v_lshrrev_b16 v41, 13, v41
	v_mad_u16 v18, v18, 51, v20
	v_mad_u16 v22, v22, 51, v35
	v_mul_u32_u24_sdwa v17, v17, v38 dst_sel:DWORD dst_unused:UNUSED_PAD src0_sel:WORD_0 src1_sel:DWORD
	v_mul_u32_u24_sdwa v19, v19, v38 dst_sel:DWORD dst_unused:UNUSED_PAD src0_sel:WORD_0 src1_sel:DWORD
	v_sub_nc_u16 v38, v64, v45
	v_mul_lo_u16 v45, v41, 51
	v_lshlrev_b32_sdwa v69, v1, v18 dst_sel:DWORD dst_unused:UNUSED_PAD src0_sel:DWORD src1_sel:WORD_0
	v_add_lshl_u32 v72, v17, v21, 2
	v_lshlrev_b32_sdwa v71, v1, v22 dst_sel:DWORD dst_unused:UNUSED_PAD src0_sel:DWORD src1_sel:WORD_0
	v_and_b32_e32 v47, 0xff, v38
	v_sub_nc_u16 v16, v16, v45
	v_add_lshl_u32 v73, v19, v36, 2
	s_waitcnt lgkmcnt(4)
	v_lshrrev_b32_e32 v18, 16, v6
	s_waitcnt lgkmcnt(3)
	v_lshrrev_b32_e32 v21, 16, v8
	v_lshrrev_b32_e32 v38, 16, v39
	v_and_b32_e32 v45, 0xff, v16
	v_lshrrev_b32_e32 v16, 16, v5
	v_lshrrev_b32_e32 v22, 16, v7
	s_waitcnt lgkmcnt(0)
	v_lshrrev_b32_e32 v54, 16, v15
	v_lshrrev_b32_e32 v48, 16, v9
	v_lshrrev_b32_e32 v49, 16, v12
	v_lshrrev_b32_e32 v51, 16, v14
	v_lshrrev_b32_e32 v52, 16, v13
	v_lshrrev_b32_e32 v35, 16, v2
	v_mad_u16 v23, v23, 51, v37
	v_lshrrev_b32_e32 v37, 16, v3
	v_lshrrev_b32_e32 v50, 16, v11
	;; [unrolled: 1-line block ×3, first 2 shown]
	v_mul_lo_u16 v46, v44, 51
	v_lshlrev_b32_sdwa v70, v1, v23 dst_sel:DWORD dst_unused:UNUSED_PAD src0_sel:DWORD src1_sel:WORD_0
	v_lshrrev_b32_e32 v23, 16, v10
	s_waitcnt vmcnt(0)
	s_barrier
	v_sub_nc_u16 v46, v0, v46
	buffer_gl0_inv
	v_lshlrev_b32_e32 v17, 4, v47
	v_lshlrev_b16 v20, 4, v46
	v_mad_u16 v44, 0xff, v44, v46
	v_mul_f16_sdwa v19, v16, v33 dst_sel:DWORD dst_unused:UNUSED_PAD src0_sel:DWORD src1_sel:WORD_1
	v_mul_f16_sdwa v36, v5, v33 dst_sel:DWORD dst_unused:UNUSED_PAD src0_sel:DWORD src1_sel:WORD_1
	;; [unrolled: 1-line block ×8, first 2 shown]
	v_fma_f16 v5, v5, v33, -v19
	v_fmac_f16_e32 v36, v16, v33
	v_fma_f16 v6, v6, v34, -v55
	v_fmac_f16_e32 v56, v18, v34
	v_mul_f16_sdwa v16, v21, v31 dst_sel:DWORD dst_unused:UNUSED_PAD src0_sel:DWORD src1_sel:WORD_1
	v_mul_f16_sdwa v18, v8, v31 dst_sel:DWORD dst_unused:UNUSED_PAD src0_sel:DWORD src1_sel:WORD_1
	;; [unrolled: 1-line block ×12, first 2 shown]
	v_fma_f16 v15, v15, v25, -v57
	v_fmac_f16_e32 v58, v54, v25
	v_fma_f16 v39, v39, v26, -v59
	v_fmac_f16_e32 v60, v38, v26
	;; [unrolled: 2-line block ×4, first 2 shown]
	v_fmac_f16_e32 v76, v51, v27
	v_fmac_f16_e32 v78, v52, v28
	v_add_f16_e32 v16, v2, v5
	v_add_f16_e32 v19, v5, v6
	v_sub_f16_e32 v21, v36, v56
	v_add_f16_e32 v22, v35, v36
	v_add_f16_e32 v36, v36, v56
	v_fma_f16 v9, v9, v29, -v66
	v_fmac_f16_e32 v67, v48, v29
	v_fma_f16 v12, v12, v30, -v68
	v_fmac_f16_e32 v74, v49, v30
	v_fma_f16 v14, v14, v27, -v75
	v_fma_f16 v13, v13, v28, -v77
	v_sub_f16_e32 v5, v5, v6
	v_add_f16_e32 v38, v4, v15
	v_add_f16_e32 v48, v15, v39
	;; [unrolled: 1-line block ×5, first 2 shown]
	v_fma_f16 v2, -0.5, v19, v2
	v_add_f16_e32 v16, v22, v56
	v_fmac_f16_e32 v35, -0.5, v36
	v_add_f16_e32 v22, v8, v7
	v_sub_f16_e32 v36, v18, v55
	v_add_f16_e32 v54, v37, v18
	v_add_f16_e32 v18, v18, v55
	v_sub_f16_e32 v75, v76, v78
	v_add_f16_e32 v77, v50, v76
	v_add_f16_e32 v76, v76, v78
	;; [unrolled: 1-line block ×5, first 2 shown]
	v_sub_f16_e32 v49, v58, v60
	v_sub_f16_e32 v15, v15, v39
	v_add_f16_e32 v19, v3, v8
	v_sub_f16_e32 v8, v8, v7
	v_sub_f16_e32 v58, v67, v74
	v_add_f16_e32 v59, v23, v67
	v_add_f16_e32 v67, v11, v14
	v_sub_f16_e32 v14, v14, v13
	v_add_f16_e32 v38, v38, v39
	v_fmac_f16_e32 v4, -0.5, v48
	v_add_f16_e32 v39, v51, v60
	v_fmac_f16_e32 v53, -0.5, v52
	v_fmamk_f16 v48, v21, 0x3aee, v2
	v_fmac_f16_e32 v2, 0xbaee, v21
	v_fmamk_f16 v21, v5, 0xbaee, v35
	v_fmac_f16_e32 v3, -0.5, v22
	v_fmac_f16_e32 v37, -0.5, v18
	;; [unrolled: 1-line block ×3, first 2 shown]
	v_fmac_f16_e32 v35, 0x3aee, v5
	v_add_f16_e32 v56, v10, v9
	v_sub_f16_e32 v9, v9, v12
	v_fma_f16 v10, -0.5, v57, v10
	v_fmac_f16_e32 v23, -0.5, v66
	v_fmac_f16_e32 v11, -0.5, v68
	v_add_f16_e32 v5, v19, v7
	v_add_f16_e32 v7, v54, v55
	v_fmamk_f16 v22, v49, 0x3aee, v4
	v_fmac_f16_e32 v4, 0xbaee, v49
	v_fmamk_f16 v49, v15, 0xbaee, v53
	v_fmac_f16_e32 v53, 0x3aee, v15
	v_pack_b32_f16 v6, v6, v16
	v_pack_b32_f16 v15, v38, v39
	v_fmamk_f16 v16, v36, 0x3aee, v3
	v_fmac_f16_e32 v3, 0xbaee, v36
	v_fmamk_f16 v36, v8, 0xbaee, v37
	v_fmamk_f16 v39, v14, 0xbaee, v50
	v_fmac_f16_e32 v50, 0x3aee, v14
	v_pack_b32_f16 v14, v48, v21
	v_fmac_f16_e32 v37, 0x3aee, v8
	v_pack_b32_f16 v2, v2, v35
	v_add_f16_e32 v12, v56, v12
	v_add_f16_e32 v18, v59, v74
	v_fmamk_f16 v8, v58, 0x3aee, v10
	v_fmamk_f16 v38, v9, 0xbaee, v23
	v_fmac_f16_e32 v10, 0xbaee, v58
	v_fmac_f16_e32 v23, 0x3aee, v9
	v_add_f16_e32 v13, v67, v13
	v_add_f16_e32 v19, v77, v78
	v_fmamk_f16 v9, v75, 0x3aee, v11
	v_fmac_f16_e32 v11, 0xbaee, v75
	v_pack_b32_f16 v5, v5, v7
	ds_write2_b32 v72, v6, v14 offset1:17
	ds_write_b32 v72, v2 offset:136
	v_pack_b32_f16 v2, v16, v36
	v_pack_b32_f16 v3, v3, v37
	;; [unrolled: 1-line block ×10, first 2 shown]
	ds_write2_b32 v73, v5, v2 offset1:17
	ds_write_b32 v73, v3 offset:136
	ds_write2_b32 v71, v7, v6 offset1:17
	ds_write_b32 v71, v8 offset:136
	;; [unrolled: 2-line block ×4, first 2 shown]
	v_lshlrev_b32_e32 v2, 4, v45
	v_and_b32_e32 v3, 0xffff, v20
	s_waitcnt lgkmcnt(0)
	s_barrier
	buffer_gl0_inv
	s_clause 0x1
	global_load_dwordx4 v[12:15], v17, s[2:3] offset:136
	global_load_dwordx4 v[8:11], v2, s[2:3] offset:136
	v_add_co_u32 v2, s0, s2, v3
	v_add_co_ci_u32_e64 v3, null, s3, 0, s0
	v_mov_b32_e32 v39, 0xff
	v_lshlrev_b32_sdwa v66, v1, v44 dst_sel:DWORD dst_unused:UNUSED_PAD src0_sel:DWORD src1_sel:WORD_0
	v_cmp_gt_u16_e64 s0, 17, v64
	global_load_dwordx4 v[4:7], v[2:3], off offset:136
	ds_read2_b32 v[2:3], v65 offset1:119
	ds_read2_b32 v[16:17], v101 offset0:110 offset1:229
	ds_read2_b32 v[18:19], v99 offset0:74 offset1:193
	;; [unrolled: 1-line block ×5, first 2 shown]
	v_mul_u32_u24_sdwa v40, v40, v39 dst_sel:DWORD dst_unused:UNUSED_PAD src0_sel:WORD_0 src1_sel:DWORD
	ds_read2_b32 v[37:38], v79 offset0:38 offset1:157
	v_mul_u32_u24_sdwa v39, v41, v39 dst_sel:DWORD dst_unused:UNUSED_PAD src0_sel:WORD_0 src1_sel:DWORD
	v_add_lshl_u32 v68, v40, v47, 2
	ds_read_b32 v40, v65 offset:6664
	v_add_lshl_u32 v67, v39, v45, 2
	s_waitcnt vmcnt(0) lgkmcnt(0)
	s_barrier
	buffer_gl0_inv
	v_lshrrev_b32_e32 v1, 16, v2
	v_lshrrev_b32_e32 v39, 16, v17
	;; [unrolled: 1-line block ×15, first 2 shown]
	v_mul_f16_sdwa v56, v39, v12 dst_sel:DWORD dst_unused:UNUSED_PAD src0_sel:DWORD src1_sel:WORD_1
	v_mul_f16_sdwa v57, v17, v12 dst_sel:DWORD dst_unused:UNUSED_PAD src0_sel:DWORD src1_sel:WORD_1
	;; [unrolled: 1-line block ×24, first 2 shown]
	v_fma_f16 v17, v17, v12, -v56
	v_fmac_f16_e32 v57, v39, v12
	v_fma_f16 v18, v18, v13, -v58
	v_fmac_f16_e32 v59, v41, v13
	;; [unrolled: 2-line block ×12, first 2 shown]
	v_add_f16_e32 v40, v2, v17
	v_add_f16_e32 v41, v18, v21
	v_sub_f16_e32 v47, v17, v18
	v_sub_f16_e32 v48, v22, v21
	v_add_f16_e32 v49, v17, v22
	v_sub_f16_e32 v50, v18, v17
	v_sub_f16_e32 v52, v21, v22
	v_add_f16_e32 v53, v1, v57
	v_add_f16_e32 v54, v59, v75
	;; [unrolled: 1-line block ×3, first 2 shown]
	v_sub_f16_e32 v56, v57, v59
	v_sub_f16_e32 v58, v76, v75
	v_add_f16_e32 v77, v3, v35
	v_add_f16_e32 v81, v19, v37
	v_add_f16_e32 v96, v46, v78
	v_add_f16_e32 v97, v82, v84
	v_add_f16_e32 v91, v35, v23
	v_add_f16_e32 v105, v78, v86
	v_sub_f16_e32 v44, v57, v76
	v_sub_f16_e32 v17, v17, v22
	;; [unrolled: 1-line block ×5, first 2 shown]
	v_add_f16_e32 v107, v16, v36
	v_add_f16_e32 v108, v20, v38
	;; [unrolled: 1-line block ×7, first 2 shown]
	v_fma_f16 v40, -0.5, v41, v2
	v_add_f16_e32 v47, v47, v48
	v_fma_f16 v2, -0.5, v49, v2
	v_add_f16_e32 v48, v50, v52
	v_add_f16_e32 v49, v53, v59
	v_fma_f16 v50, -0.5, v54, v1
	v_sub_f16_e32 v45, v59, v75
	v_sub_f16_e32 v87, v35, v19
	;; [unrolled: 1-line block ×3, first 2 shown]
	v_fmac_f16_e32 v1, -0.5, v60
	v_sub_f16_e32 v83, v78, v86
	v_sub_f16_e32 v93, v19, v35
	;; [unrolled: 1-line block ×4, first 2 shown]
	v_add_f16_e32 v52, v56, v58
	v_add_f16_e32 v19, v77, v19
	v_fma_f16 v54, -0.5, v81, v3
	v_add_f16_e32 v58, v96, v82
	v_fma_f16 v59, -0.5, v97, v46
	v_sub_f16_e32 v85, v82, v84
	v_sub_f16_e32 v95, v37, v23
	v_fmac_f16_e32 v3, -0.5, v91
	v_fmac_f16_e32 v46, -0.5, v105
	v_sub_f16_e32 v103, v78, v82
	v_sub_f16_e32 v78, v82, v78
	;; [unrolled: 1-line block ×8, first 2 shown]
	v_add_f16_e32 v53, v57, v74
	v_add_f16_e32 v20, v107, v20
	v_fma_f16 v41, -0.5, v108, v16
	v_fmac_f16_e32 v16, -0.5, v113
	v_add_f16_e32 v82, v116, v90
	v_fma_f16 v74, -0.5, v117, v51
	v_fmac_f16_e32 v51, -0.5, v121
	v_add_f16_e32 v18, v18, v21
	v_fmamk_f16 v21, v44, 0x3b9c, v40
	v_add_f16_e32 v49, v49, v75
	v_fmamk_f16 v75, v17, 0xbb9c, v50
	v_sub_f16_e32 v119, v88, v90
	v_sub_f16_e32 v88, v90, v88
	v_add_f16_e32 v56, v87, v89
	v_fmamk_f16 v89, v45, 0xbb9c, v2
	v_fmac_f16_e32 v2, 0x3b9c, v45
	v_fmamk_f16 v90, v55, 0x3b9c, v1
	v_fmac_f16_e32 v1, 0xbb9c, v55
	v_fmac_f16_e32 v40, 0xbb9c, v44
	;; [unrolled: 1-line block ×3, first 2 shown]
	v_sub_f16_e32 v104, v86, v84
	v_sub_f16_e32 v106, v84, v86
	v_add_f16_e32 v19, v19, v37
	v_fmamk_f16 v37, v83, 0x3b9c, v54
	v_add_f16_e32 v58, v58, v84
	v_fmamk_f16 v84, v35, 0xbb9c, v59
	;; [unrolled: 2-line block ×3, first 2 shown]
	v_fmac_f16_e32 v3, 0x3b9c, v85
	v_fmamk_f16 v93, v102, 0x3b9c, v46
	v_fmac_f16_e32 v46, 0xbb9c, v102
	v_sub_f16_e32 v112, v39, v38
	v_sub_f16_e32 v115, v38, v39
	;; [unrolled: 1-line block ×4, first 2 shown]
	v_fmac_f16_e32 v54, 0xbb9c, v83
	v_fmac_f16_e32 v59, 0x3b9c, v35
	v_add_f16_e32 v20, v20, v38
	v_fmamk_f16 v38, v109, 0x3b9c, v41
	v_fmac_f16_e32 v41, 0xbb9c, v109
	v_fmamk_f16 v95, v110, 0xbb9c, v16
	v_fmac_f16_e32 v16, 0x3b9c, v110
	v_add_f16_e32 v82, v82, v92
	v_fmamk_f16 v92, v36, 0xbb9c, v74
	v_fmac_f16_e32 v74, 0x3b9c, v36
	v_fmamk_f16 v96, v118, 0x3b9c, v51
	v_fmac_f16_e32 v51, 0xbb9c, v118
	v_fmac_f16_e32 v21, 0x38b4, v45
	;; [unrolled: 1-line block ×9, first 2 shown]
	v_add_f16_e32 v60, v103, v104
	v_fmac_f16_e32 v37, 0x38b4, v85
	v_fmac_f16_e32 v84, 0xb8b4, v102
	v_add_f16_e32 v77, v78, v106
	v_fmac_f16_e32 v91, 0x38b4, v83
	v_fmac_f16_e32 v3, 0xb8b4, v83
	;; [unrolled: 1-line block ×4, first 2 shown]
	v_add_f16_e32 v78, v111, v112
	v_add_f16_e32 v81, v114, v115
	;; [unrolled: 1-line block ×7, first 2 shown]
	v_fmac_f16_e32 v54, 0xb8b4, v85
	v_add_f16_e32 v19, v58, v86
	v_fmac_f16_e32 v59, 0x38b4, v102
	v_add_f16_e32 v20, v20, v39
	v_fmac_f16_e32 v38, 0x38b4, v110
	v_fmac_f16_e32 v41, 0xb8b4, v110
	;; [unrolled: 1-line block ×4, first 2 shown]
	v_add_f16_e32 v23, v82, v94
	v_fmac_f16_e32 v92, 0xb8b4, v118
	v_fmac_f16_e32 v74, 0x38b4, v118
	;; [unrolled: 1-line block ×28, first 2 shown]
	v_pack_b32_f16 v18, v18, v22
	v_pack_b32_f16 v17, v17, v19
	;; [unrolled: 1-line block ×15, first 2 shown]
	ds_write2_b32 v68, v18, v20 offset1:51
	ds_write2_b32 v68, v21, v1 offset0:102 offset1:153
	ds_write_b32 v68, v2 offset:816
	ds_write2_b32 v67, v17, v22 offset1:51
	ds_write2_b32 v67, v23, v3 offset0:102 offset1:153
	ds_write_b32 v67, v35 offset:816
	;; [unrolled: 3-line block ×3, first 2 shown]
	s_waitcnt lgkmcnt(0)
	s_barrier
	buffer_gl0_inv
	ds_read2_b32 v[45:46], v65 offset1:119
	ds_read2_b32 v[49:50], v101 offset0:127 offset1:246
	ds_read2_b32 v[51:52], v80 offset0:126 offset1:245
	;; [unrolled: 1-line block ×6, first 2 shown]
                                        ; implicit-def: $vgpr76
                                        ; implicit-def: $vgpr48
                                        ; implicit-def: $vgpr77
                                        ; implicit-def: $vgpr75
                                        ; implicit-def: $vgpr78
                                        ; implicit-def: $vgpr81
	s_and_saveexec_b32 s1, s0
	s_cbranch_execz .LBB0_9
; %bb.8:
	v_add_nc_u32_e32 v1, 0x3b8, v65
	v_add_nc_u32_e32 v2, 0xbb0, v65
	v_add_nc_u32_e32 v3, 0x13a8, v65
	ds_read2_b32 v[41:42], v1 offset1:255
	ds_read2_b32 v[43:44], v2 offset1:255
	;; [unrolled: 1-line block ×3, first 2 shown]
	ds_read_b32 v75, v65 offset:7072
	s_waitcnt lgkmcnt(3)
	v_lshrrev_b32_e32 v74, 16, v41
	v_lshrrev_b32_e32 v61, 16, v42
	s_waitcnt lgkmcnt(2)
	v_lshrrev_b32_e32 v62, 16, v43
	v_lshrrev_b32_e32 v76, 16, v44
	;; [unrolled: 3-line block ×3, first 2 shown]
	s_waitcnt lgkmcnt(0)
	v_lshrrev_b32_e32 v78, 16, v75
.LBB0_9:
	s_or_b32 exec_lo, exec_lo, s1
	v_mad_u64_u32 v[1:2], null, v64, 24, s[2:3]
	s_waitcnt lgkmcnt(5)
	v_lshrrev_b32_e32 v82, 16, v49
	s_waitcnt lgkmcnt(4)
	v_lshrrev_b32_e32 v83, 16, v51
	;; [unrolled: 2-line block ×6, first 2 shown]
	s_clause 0x1
	global_load_dwordx4 v[20:23], v[1:2], off offset:952
	global_load_dwordx2 v[37:38], v[1:2], off offset:968
	v_add_co_u32 v1, s1, 0xb28, v1
	v_add_co_ci_u32_e64 v2, s1, 0, v2, s1
	v_lshrrev_b32_e32 v88, 16, v50
	v_lshrrev_b32_e32 v89, 16, v52
	s_clause 0x1
	global_load_dwordx4 v[16:19], v[1:2], off offset:952
	global_load_dwordx2 v[39:40], v[1:2], off offset:968
	v_subrev_nc_u32_e32 v1, 17, v64
	v_lshrrev_b32_e32 v90, 16, v54
	v_lshrrev_b32_e32 v91, 16, v56
	;; [unrolled: 1-line block ×4, first 2 shown]
	v_cndmask_b32_e64 v0, v1, v0, s0
	v_mul_i32_i24_e32 v1, 24, v0
	v_mul_hi_i32_i24_e32 v0, 24, v0
	v_add_co_u32 v35, s1, s2, v1
	v_add_co_ci_u32_e64 v36, s1, s3, v0, s1
	s_clause 0x1
	global_load_dwordx4 v[0:3], v[35:36], off offset:952
	global_load_dwordx2 v[35:36], v[35:36], off offset:968
	s_waitcnt vmcnt(5)
	v_mul_f16_sdwa v94, v82, v20 dst_sel:DWORD dst_unused:UNUSED_PAD src0_sel:DWORD src1_sel:WORD_1
	v_mul_f16_sdwa v95, v49, v20 dst_sel:DWORD dst_unused:UNUSED_PAD src0_sel:DWORD src1_sel:WORD_1
	;; [unrolled: 1-line block ×8, first 2 shown]
	s_waitcnt vmcnt(4)
	v_mul_f16_sdwa v106, v86, v37 dst_sel:DWORD dst_unused:UNUSED_PAD src0_sel:DWORD src1_sel:WORD_1
	v_mul_f16_sdwa v107, v57, v37 dst_sel:DWORD dst_unused:UNUSED_PAD src0_sel:DWORD src1_sel:WORD_1
	;; [unrolled: 1-line block ×4, first 2 shown]
	v_fma_f16 v49, v49, v20, -v94
	v_fmac_f16_e32 v95, v82, v20
	v_fma_f16 v51, v51, v21, -v96
	v_fmac_f16_e32 v97, v83, v21
	;; [unrolled: 2-line block ×6, first 2 shown]
	s_waitcnt vmcnt(3)
	v_mul_f16_sdwa v82, v88, v16 dst_sel:DWORD dst_unused:UNUSED_PAD src0_sel:DWORD src1_sel:WORD_1
	v_mul_f16_sdwa v83, v50, v16 dst_sel:DWORD dst_unused:UNUSED_PAD src0_sel:DWORD src1_sel:WORD_1
	;; [unrolled: 1-line block ×8, first 2 shown]
	s_waitcnt vmcnt(2)
	v_mul_f16_sdwa v102, v92, v39 dst_sel:DWORD dst_unused:UNUSED_PAD src0_sel:DWORD src1_sel:WORD_1
	v_mul_f16_sdwa v104, v58, v39 dst_sel:DWORD dst_unused:UNUSED_PAD src0_sel:DWORD src1_sel:WORD_1
	;; [unrolled: 1-line block ×4, first 2 shown]
	v_fma_f16 v50, v50, v16, -v82
	v_fmac_f16_e32 v83, v88, v16
	v_fma_f16 v52, v52, v17, -v84
	v_fmac_f16_e32 v85, v89, v17
	;; [unrolled: 2-line block ×6, first 2 shown]
	v_add_f16_e32 v82, v49, v59
	v_add_f16_e32 v84, v95, v109
	v_sub_f16_e32 v49, v49, v59
	v_sub_f16_e32 v59, v95, v109
	v_add_f16_e32 v86, v51, v57
	v_add_f16_e32 v88, v97, v107
	v_sub_f16_e32 v51, v51, v57
	v_sub_f16_e32 v57, v97, v107
	;; [unrolled: 4-line block ×3, first 2 shown]
	s_waitcnt vmcnt(1)
	v_mul_f16_sdwa v91, v61, v0 dst_sel:DWORD dst_unused:UNUSED_PAD src0_sel:DWORD src1_sel:WORD_1
	v_mul_f16_sdwa v92, v42, v0 dst_sel:DWORD dst_unused:UNUSED_PAD src0_sel:DWORD src1_sel:WORD_1
	v_mul_f16_sdwa v93, v62, v1 dst_sel:DWORD dst_unused:UNUSED_PAD src0_sel:DWORD src1_sel:WORD_1
	v_mul_f16_sdwa v94, v43, v1 dst_sel:DWORD dst_unused:UNUSED_PAD src0_sel:DWORD src1_sel:WORD_1
	s_waitcnt vmcnt(0)
	v_mul_f16_sdwa v105, v77, v35 dst_sel:DWORD dst_unused:UNUSED_PAD src0_sel:DWORD src1_sel:WORD_1
	v_mul_f16_sdwa v106, v48, v35 dst_sel:DWORD dst_unused:UNUSED_PAD src0_sel:DWORD src1_sel:WORD_1
	;; [unrolled: 1-line block ×8, first 2 shown]
	v_add_f16_e32 v110, v86, v82
	v_add_f16_e32 v111, v88, v84
	v_sub_f16_e32 v112, v86, v82
	v_sub_f16_e32 v113, v88, v84
	;; [unrolled: 1-line block ×6, first 2 shown]
	v_add_f16_e32 v114, v53, v51
	v_add_f16_e32 v115, v55, v57
	v_sub_f16_e32 v116, v53, v51
	v_sub_f16_e32 v117, v55, v57
	;; [unrolled: 1-line block ×4, first 2 shown]
	v_add_f16_e32 v118, v50, v60
	v_add_f16_e32 v119, v83, v108
	v_sub_f16_e32 v50, v50, v60
	v_sub_f16_e32 v60, v83, v108
	v_add_f16_e32 v83, v52, v58
	v_add_f16_e32 v108, v85, v104
	v_sub_f16_e32 v52, v52, v58
	v_sub_f16_e32 v58, v85, v104
	v_add_f16_e32 v85, v54, v56
	v_add_f16_e32 v104, v87, v96
	v_sub_f16_e32 v54, v56, v54
	v_sub_f16_e32 v56, v96, v87
	v_fma_f16 v42, v42, v0, -v91
	v_fmac_f16_e32 v92, v61, v0
	v_fma_f16 v43, v43, v1, -v93
	v_fmac_f16_e32 v94, v62, v1
	;; [unrolled: 2-line block ×4, first 2 shown]
	v_sub_f16_e32 v53, v49, v53
	v_sub_f16_e32 v55, v59, v55
	v_fma_f16 v44, v44, v2, -v95
	v_fmac_f16_e32 v97, v76, v2
	v_fma_f16 v47, v47, v3, -v102
	v_fmac_f16_e32 v103, v81, v3
	v_add_f16_e32 v62, v89, v110
	v_add_f16_e32 v75, v90, v111
	;; [unrolled: 1-line block ×4, first 2 shown]
	v_mul_f16_e32 v76, 0x3a52, v82
	v_mul_f16_e32 v77, 0x3a52, v84
	;; [unrolled: 1-line block ×8, first 2 shown]
	v_add_f16_e32 v90, v83, v118
	v_add_f16_e32 v91, v108, v119
	v_sub_f16_e32 v95, v108, v119
	v_sub_f16_e32 v105, v104, v108
	v_add_f16_e32 v107, v54, v52
	v_add_f16_e32 v108, v56, v58
	;; [unrolled: 1-line block ×4, first 2 shown]
	v_sub_f16_e32 v42, v42, v61
	v_sub_f16_e32 v61, v92, v109
	v_add_f16_e32 v92, v43, v48
	v_add_f16_e32 v109, v94, v106
	v_sub_f16_e32 v93, v83, v118
	v_sub_f16_e32 v96, v118, v85
	;; [unrolled: 1-line block ×11, first 2 shown]
	v_add_f16_e32 v94, v44, v47
	v_add_f16_e32 v106, v97, v103
	v_sub_f16_e32 v44, v47, v44
	v_sub_f16_e32 v97, v103, v97
	v_add_f16_e32 v47, v45, v62
	v_add_f16_sdwa v45, v45, v75 dst_sel:DWORD dst_unused:UNUSED_PAD src0_sel:WORD_1 src1_sel:DWORD
	v_fmamk_f16 v86, v86, 0x2b26, v76
	v_fmamk_f16 v88, v88, 0x2b26, v77
	v_fma_f16 v78, v112, 0x39e0, -v78
	v_fma_f16 v103, v113, 0x39e0, -v81
	v_fma_f16 v76, v112, 0xb9e0, -v76
	v_fma_f16 v77, v113, 0xb9e0, -v77
	v_fmamk_f16 v112, v53, 0x3574, v82
	v_fmamk_f16 v113, v55, 0x3574, v84
	v_fma_f16 v116, v51, 0x3b00, -v82
	v_fma_f16 v57, v57, 0x3b00, -v84
	;; [unrolled: 1-line block ×4, first 2 shown]
	v_add_f16_e32 v51, v85, v90
	v_add_f16_e32 v53, v104, v91
	;; [unrolled: 1-line block ×6, first 2 shown]
	v_sub_f16_e32 v54, v50, v54
	v_mul_f16_e32 v82, 0x3a52, v96
	v_mul_f16_e32 v85, 0x3a52, v102
	;; [unrolled: 1-line block ×8, first 2 shown]
	v_sub_f16_e32 v110, v92, v114
	v_sub_f16_e32 v111, v109, v115
	;; [unrolled: 1-line block ×6, first 2 shown]
	v_add_f16_e32 v117, v44, v43
	v_add_f16_e32 v118, v97, v48
	v_sub_f16_e32 v119, v44, v43
	v_sub_f16_e32 v120, v97, v48
	;; [unrolled: 1-line block ×4, first 2 shown]
	v_fmamk_f16 v62, v62, 0xbcab, v47
	v_fmamk_f16 v75, v75, 0xbcab, v45
	v_add_f16_e32 v50, v46, v51
	v_add_f16_sdwa v81, v46, v53 dst_sel:DWORD dst_unused:UNUSED_PAD src0_sel:WORD_1 src1_sel:DWORD
	v_add_f16_e32 v94, v94, v107
	v_add_f16_e32 v106, v106, v108
	v_sub_f16_e32 v44, v42, v44
	v_sub_f16_e32 v97, v61, v97
	v_fmac_f16_e32 v112, 0x370e, v49
	v_fmac_f16_e32 v113, 0x370e, v59
	;; [unrolled: 1-line block ×6, first 2 shown]
	v_fmamk_f16 v46, v83, 0x2b26, v82
	v_fmamk_f16 v59, v105, 0x2b26, v85
	v_fma_f16 v83, v93, 0x39e0, -v89
	v_fma_f16 v90, v95, 0x39e0, -v90
	;; [unrolled: 1-line block ×4, first 2 shown]
	v_fmamk_f16 v121, v54, 0x3574, v91
	v_fmamk_f16 v122, v56, 0x3574, v96
	v_fma_f16 v52, v52, 0x3b00, -v91
	v_fma_f16 v58, v58, 0x3b00, -v96
	v_fma_f16 v102, v54, 0xb574, -v102
	v_fma_f16 v104, v56, 0xb574, -v104
	v_mul_f16_e32 v49, 0x3a52, v114
	v_mul_f16_e32 v54, 0x3a52, v115
	;; [unrolled: 1-line block ×8, first 2 shown]
	v_add_f16_e32 v86, v86, v62
	v_add_f16_e32 v88, v88, v75
	;; [unrolled: 1-line block ×6, first 2 shown]
	v_fmamk_f16 v76, v51, 0xbcab, v50
	v_fmamk_f16 v77, v53, 0xbcab, v81
	v_add_f16_e32 v51, v41, v94
	v_add_f16_e32 v82, v74, v106
	v_pack_b32_f16 v96, v47, v45
	v_add_f16_e32 v42, v117, v42
	v_add_f16_e32 v61, v118, v61
	v_fmac_f16_e32 v121, 0x370e, v55
	v_fmac_f16_e32 v122, 0x370e, v60
	;; [unrolled: 1-line block ×6, first 2 shown]
	v_pack_b32_f16 v60, v50, v81
	v_fmamk_f16 v41, v92, 0x2b26, v49
	v_fmamk_f16 v74, v109, 0x2b26, v54
	v_fma_f16 v108, v110, 0x39e0, -v56
	v_fma_f16 v109, v111, 0x39e0, -v89
	;; [unrolled: 1-line block ×4, first 2 shown]
	v_fmamk_f16 v114, v44, 0x3574, v91
	v_fmamk_f16 v115, v97, 0x3574, v93
	v_fma_f16 v117, v43, 0x3b00, -v91
	v_fma_f16 v43, v48, 0x3b00, -v93
	v_fma_f16 v118, v44, 0xb574, -v95
	v_fma_f16 v44, v97, 0xb574, -v107
	v_sub_f16_e32 v95, v75, v84
	v_sub_f16_e32 v54, v78, v57
	v_add_f16_e32 v55, v57, v78
	v_add_f16_e32 v89, v84, v75
	;; [unrolled: 1-line block ×8, first 2 shown]
	v_fmamk_f16 v83, v94, 0xbcab, v51
	v_fmamk_f16 v84, v106, 0xbcab, v82
	v_add_f16_e32 v48, v113, v86
	v_sub_f16_e32 v97, v88, v112
	v_add_f16_e32 v53, v87, v62
	v_sub_f16_e32 v56, v62, v87
	v_sub_f16_e32 v49, v86, v113
	v_add_f16_e32 v87, v112, v88
	ds_write2_b32 v65, v96, v60 offset1:119
	v_fmac_f16_e32 v114, 0x370e, v42
	v_fmac_f16_e32 v115, 0x370e, v61
	;; [unrolled: 1-line block ×6, first 2 shown]
	v_add_f16_e32 v59, v122, v46
	v_sub_f16_e32 v96, v75, v121
	v_add_f16_e32 v60, v104, v76
	v_sub_f16_e32 v94, v77, v102
	v_sub_f16_e32 v61, v57, v58
	v_add_f16_e32 v92, v52, v78
	v_add_f16_e32 v62, v58, v57
	v_sub_f16_e32 v90, v78, v52
	v_sub_f16_e32 v57, v76, v104
	v_add_f16_e32 v88, v102, v77
	v_add_f16_e32 v86, v121, v75
	;; [unrolled: 1-line block ×9, first 2 shown]
	v_sub_f16_e32 v91, v103, v116
	v_sub_f16_e32 v58, v46, v122
	v_pack_b32_f16 v46, v48, v97
	v_pack_b32_f16 v108, v59, v96
	v_add_f16_e32 v52, v115, v41
	v_sub_f16_e32 v85, v78, v114
	v_add_f16_e32 v83, v44, v77
	v_sub_f16_e32 v84, v107, v118
	v_sub_f16_e32 v42, v75, v43
	v_add_f16_e32 v74, v117, v76
	v_add_f16_e32 v43, v43, v75
	v_sub_f16_e32 v75, v76, v117
	v_sub_f16_e32 v44, v77, v44
	v_add_f16_e32 v76, v118, v107
	v_sub_f16_e32 v77, v41, v115
	v_add_f16_e32 v78, v114, v78
	v_pack_b32_f16 v102, v53, v95
	v_pack_b32_f16 v109, v60, v94
	;; [unrolled: 1-line block ×10, first 2 shown]
	ds_write2_b32 v101, v46, v108 offset0:127 offset1:246
	ds_write2_b32 v80, v102, v109 offset0:126 offset1:245
	;; [unrolled: 1-line block ×6, first 2 shown]
	s_and_saveexec_b32 s1, s0
	s_cbranch_execz .LBB0_11
; %bb.10:
	v_perm_b32 v41, v82, v51, 0x5040100
	v_perm_b32 v46, v85, v52, 0x5040100
	v_add_nc_u32_e32 v79, 0x3b8, v65
	v_perm_b32 v80, v84, v83, 0x5040100
	v_perm_b32 v98, v74, v42, 0x5040100
	v_add_nc_u32_e32 v99, 0xbb0, v65
	;; [unrolled: 3-line block ×3, first 2 shown]
	v_perm_b32 v103, v78, v77, 0x5040100
	ds_write2_b32 v79, v41, v46 offset1:255
	ds_write2_b32 v99, v80, v98 offset1:255
	;; [unrolled: 1-line block ×3, first 2 shown]
	ds_write_b32 v65, v103 offset:7072
.LBB0_11:
	s_or_b32 exec_lo, exec_lo, s1
	s_waitcnt lgkmcnt(0)
	s_barrier
	buffer_gl0_inv
	s_and_saveexec_b32 s2, vcc_lo
	s_cbranch_execz .LBB0_13
; %bb.12:
	v_add_co_u32 v41, s1, s12, v63
	v_add_co_ci_u32_e64 v46, null, s13, 0, s1
	v_add_nc_u32_e32 v126, 0x400, v63
	v_add_co_u32 v79, s1, 0x1800, v41
	v_add_co_ci_u32_e64 v80, s1, 0, v46, s1
	v_add_nc_u32_e32 v127, 0x800, v63
	v_add_nc_u32_e32 v128, 0xa00, v63
	v_add_nc_u32_e32 v129, 0xe00, v63
	global_load_dword v100, v[79:80], off offset:996
	v_add_co_u32 v79, s1, 0x1be4, v41
	v_add_co_ci_u32_e64 v80, s1, 0, v46, s1
	v_add_co_u32 v98, s1, 0x2000, v41
	v_add_co_ci_u32_e64 v99, s1, 0, v46, s1
	s_clause 0x6
	global_load_dword v112, v[79:80], off offset:420
	global_load_dword v113, v[79:80], off offset:840
	;; [unrolled: 1-line block ×7, first 2 shown]
	v_add_co_u32 v79, s1, 0x2800, v41
	v_add_co_ci_u32_e64 v80, s1, 0, v46, s1
	v_add_co_u32 v98, s1, 0x3000, v41
	v_add_co_ci_u32_e64 v99, s1, 0, v46, s1
	s_clause 0x8
	global_load_dword v119, v[79:80], off offset:260
	global_load_dword v120, v[79:80], off offset:680
	;; [unrolled: 1-line block ×9, first 2 shown]
	ds_read_b32 v79, v65
	v_add_nc_u32_e32 v130, 0x1000, v63
	v_add_nc_u32_e32 v131, 0x1400, v63
	;; [unrolled: 1-line block ×3, first 2 shown]
	s_waitcnt lgkmcnt(0)
	v_lshrrev_b32_e32 v80, 16, v79
	s_waitcnt vmcnt(16)
	v_mul_f16_sdwa v98, v80, v100 dst_sel:DWORD dst_unused:UNUSED_PAD src0_sel:DWORD src1_sel:WORD_1
	v_mul_f16_sdwa v99, v79, v100 dst_sel:DWORD dst_unused:UNUSED_PAD src0_sel:DWORD src1_sel:WORD_1
	v_fma_f16 v79, v79, v100, -v98
	v_fmac_f16_e32 v99, v80, v100
	v_pack_b32_f16 v79, v79, v99
	ds_write_b32 v65, v79
	ds_read2_b32 v[79:80], v63 offset0:105 offset1:210
	ds_read2_b32 v[98:99], v126 offset0:59 offset1:164
	;; [unrolled: 1-line block ×8, first 2 shown]
	s_waitcnt lgkmcnt(7)
	v_lshrrev_b32_e32 v133, 16, v79
	s_waitcnt vmcnt(15)
	v_mul_f16_sdwa v134, v79, v112 dst_sel:DWORD dst_unused:UNUSED_PAD src0_sel:DWORD src1_sel:WORD_1
	v_lshrrev_b32_e32 v135, 16, v80
	s_waitcnt vmcnt(14)
	v_mul_f16_sdwa v136, v80, v113 dst_sel:DWORD dst_unused:UNUSED_PAD src0_sel:DWORD src1_sel:WORD_1
	s_waitcnt lgkmcnt(6)
	v_lshrrev_b32_e32 v137, 16, v98
	s_waitcnt vmcnt(13)
	v_mul_f16_sdwa v138, v98, v114 dst_sel:DWORD dst_unused:UNUSED_PAD src0_sel:DWORD src1_sel:WORD_1
	v_lshrrev_b32_e32 v139, 16, v99
	s_waitcnt vmcnt(9)
	v_mul_f16_sdwa v140, v99, v118 dst_sel:DWORD dst_unused:UNUSED_PAD src0_sel:DWORD src1_sel:WORD_1
	s_waitcnt lgkmcnt(5)
	v_lshrrev_b32_e32 v141, 16, v100
	v_mul_f16_sdwa v142, v100, v115 dst_sel:DWORD dst_unused:UNUSED_PAD src0_sel:DWORD src1_sel:WORD_1
	v_lshrrev_b32_e32 v143, 16, v101
	v_mul_f16_sdwa v144, v101, v116 dst_sel:DWORD dst_unused:UNUSED_PAD src0_sel:DWORD src1_sel:WORD_1
	s_waitcnt lgkmcnt(4)
	v_lshrrev_b32_e32 v145, 16, v102
	v_mul_f16_sdwa v146, v102, v117 dst_sel:DWORD dst_unused:UNUSED_PAD src0_sel:DWORD src1_sel:WORD_1
	v_lshrrev_b32_e32 v147, 16, v103
	s_waitcnt vmcnt(8)
	v_mul_f16_sdwa v148, v103, v119 dst_sel:DWORD dst_unused:UNUSED_PAD src0_sel:DWORD src1_sel:WORD_1
	s_waitcnt lgkmcnt(3)
	v_lshrrev_b32_e32 v149, 16, v104
	s_waitcnt vmcnt(7)
	v_mul_f16_sdwa v150, v104, v120 dst_sel:DWORD dst_unused:UNUSED_PAD src0_sel:DWORD src1_sel:WORD_1
	v_lshrrev_b32_e32 v151, 16, v105
	s_waitcnt vmcnt(6)
	v_mul_f16_sdwa v152, v105, v121 dst_sel:DWORD dst_unused:UNUSED_PAD src0_sel:DWORD src1_sel:WORD_1
	s_waitcnt lgkmcnt(2)
	v_lshrrev_b32_e32 v153, 16, v106
	s_waitcnt vmcnt(5)
	;; [unrolled: 7-line block ×4, first 2 shown]
	v_mul_f16_sdwa v162, v110, v124 dst_sel:DWORD dst_unused:UNUSED_PAD src0_sel:DWORD src1_sel:WORD_1
	v_lshrrev_b32_e32 v163, 16, v111
	v_mul_f16_sdwa v165, v133, v112 dst_sel:DWORD dst_unused:UNUSED_PAD src0_sel:DWORD src1_sel:WORD_1
	v_fmac_f16_e32 v134, v133, v112
	v_mul_f16_sdwa v133, v135, v113 dst_sel:DWORD dst_unused:UNUSED_PAD src0_sel:DWORD src1_sel:WORD_1
	v_fmac_f16_e32 v136, v135, v113
	;; [unrolled: 2-line block ×9, first 2 shown]
	v_mul_f16_sdwa v149, v151, v121 dst_sel:DWORD dst_unused:UNUSED_PAD src0_sel:DWORD src1_sel:WORD_1
	s_waitcnt vmcnt(0)
	v_mul_f16_sdwa v164, v111, v125 dst_sel:DWORD dst_unused:UNUSED_PAD src0_sel:DWORD src1_sel:WORD_1
	v_fmac_f16_e32 v152, v151, v121
	v_mul_f16_sdwa v151, v153, v41 dst_sel:DWORD dst_unused:UNUSED_PAD src0_sel:DWORD src1_sel:WORD_1
	v_fmac_f16_e32 v154, v153, v41
	;; [unrolled: 2-line block ×6, first 2 shown]
	v_mul_f16_sdwa v161, v163, v125 dst_sel:DWORD dst_unused:UNUSED_PAD src0_sel:DWORD src1_sel:WORD_1
	v_fma_f16 v79, v79, v112, -v165
	v_fma_f16 v80, v80, v113, -v133
	;; [unrolled: 1-line block ×10, first 2 shown]
	v_fmac_f16_e32 v164, v163, v125
	v_fma_f16 v41, v106, v41, -v151
	v_fma_f16 v46, v107, v46, -v153
	v_fma_f16 v106, v108, v122, -v155
	v_fma_f16 v107, v109, v123, -v157
	v_fma_f16 v108, v110, v124, -v159
	v_fma_f16 v109, v111, v125, -v161
	v_pack_b32_f16 v79, v79, v134
	v_pack_b32_f16 v80, v80, v136
	;; [unrolled: 1-line block ×16, first 2 shown]
	ds_write2_b32 v63, v79, v80 offset0:105 offset1:210
	ds_write2_b32 v126, v98, v99 offset0:59 offset1:164
	;; [unrolled: 1-line block ×8, first 2 shown]
.LBB0_13:
	s_or_b32 exec_lo, exec_lo, s2
	s_waitcnt lgkmcnt(0)
	s_barrier
	buffer_gl0_inv
	s_and_saveexec_b32 s1, vcc_lo
	s_cbranch_execz .LBB0_15
; %bb.14:
	v_add_nc_u32_e32 v41, 0x200, v65
	v_add_nc_u32_e32 v45, 0x600, v65
	;; [unrolled: 1-line block ×3, first 2 shown]
	ds_read2_b32 v[47:48], v65 offset1:105
	ds_read2_b32 v[53:54], v41 offset0:82 offset1:187
	v_add_nc_u32_e32 v41, 0xc00, v65
	ds_read2_b32 v[55:56], v45 offset0:36 offset1:141
	v_add_nc_u32_e32 v45, 0x1000, v65
	;; [unrolled: 2-line block ×4, first 2 shown]
	ds_read2_b32 v[61:62], v45 offset0:26 offset1:131
	ds_read2_b32 v[57:58], v46 offset0:108 offset1:213
	;; [unrolled: 1-line block ×3, first 2 shown]
	ds_read_b32 v83, v65 offset:6720
	s_waitcnt lgkmcnt(8)
	v_lshrrev_b32_e32 v45, 16, v47
	v_lshrrev_b32_e32 v97, 16, v48
	s_waitcnt lgkmcnt(7)
	v_lshrrev_b32_e32 v95, 16, v53
	v_lshrrev_b32_e32 v93, 16, v54
	s_waitcnt lgkmcnt(6)
	v_lshrrev_b32_e32 v91, 16, v55
	v_lshrrev_b32_e32 v89, 16, v56
	s_waitcnt lgkmcnt(5)
	v_lshrrev_b32_e32 v87, 16, v49
	v_lshrrev_b32_e32 v81, 16, v50
	s_waitcnt lgkmcnt(4)
	v_lshrrev_b32_e32 v96, 16, v59
	v_lshrrev_b32_e32 v94, 16, v60
	s_waitcnt lgkmcnt(3)
	v_lshrrev_b32_e32 v92, 16, v61
	v_lshrrev_b32_e32 v90, 16, v62
	s_waitcnt lgkmcnt(2)
	v_lshrrev_b32_e32 v88, 16, v57
	v_lshrrev_b32_e32 v86, 16, v58
	s_waitcnt lgkmcnt(1)
	v_lshrrev_b32_e32 v82, 16, v51
	v_lshrrev_b32_e32 v85, 16, v52
	s_waitcnt lgkmcnt(0)
	v_lshrrev_b32_e32 v84, 16, v83
.LBB0_15:
	s_or_b32 exec_lo, exec_lo, s1
	v_sub_f16_e32 v155, v97, v84
	v_add_f16_e32 v150, v84, v97
	v_add_f16_e32 v98, v83, v48
	v_sub_f16_e32 v100, v48, v83
	v_add_f16_e32 v151, v85, v95
	v_mul_f16_e32 v114, 0xb5c8, v155
	v_mul_f16_e32 v115, 0x3b76, v150
	v_sub_f16_e32 v157, v95, v85
	v_add_f16_e32 v99, v52, v53
	v_mul_f16_e32 v129, 0xb964, v155
	v_fma_f16 v41, v98, 0x3b76, -v114
	v_fmamk_f16 v46, v100, 0xb5c8, v115
	v_mul_f16_e32 v134, 0x39e9, v150
	v_mul_f16_e32 v116, 0xb964, v157
	v_sub_f16_e32 v102, v53, v52
	v_mul_f16_e32 v117, 0x39e9, v151
	v_add_f16_e32 v41, v47, v41
	v_add_f16_e32 v46, v45, v46
	v_fma_f16 v79, v98, 0x39e9, -v129
	v_fmamk_f16 v80, v100, 0xb964, v134
	v_fma_f16 v101, v99, 0x39e9, -v116
	v_sub_f16_e32 v159, v93, v82
	v_fmamk_f16 v103, v102, 0xb964, v117
	v_mul_f16_e32 v133, 0xbbf7, v157
	v_mul_f16_e32 v135, 0x2de8, v151
	v_add_f16_e32 v156, v82, v93
	v_add_f16_e32 v79, v47, v79
	;; [unrolled: 1-line block ×5, first 2 shown]
	v_mul_f16_e32 v118, 0xbb29, v159
	v_add_f16_e32 v46, v103, v46
	v_fma_f16 v104, v99, 0x2de8, -v133
	v_fmamk_f16 v105, v102, 0xbbf7, v135
	v_sub_f16_e32 v103, v54, v51
	v_mul_f16_e32 v119, 0x3722, v156
	v_sub_f16_e32 v163, v91, v86
	v_fma_f16 v106, v101, 0x3722, -v118
	v_add_f16_e32 v79, v104, v79
	v_add_f16_e32 v80, v105, v80
	v_fmamk_f16 v105, v103, 0xbb29, v119
	v_mul_f16_e32 v136, 0xba62, v159
	v_mul_f16_e32 v137, 0xb8d2, v156
	v_add_f16_e32 v104, v58, v55
	v_mul_f16_e32 v120, 0xbbf7, v163
	v_add_f16_e32 v158, v86, v91
	v_add_f16_e32 v41, v106, v41
	;; [unrolled: 1-line block ×3, first 2 shown]
	v_fma_f16 v106, v101, 0xb8d2, -v136
	v_fmamk_f16 v107, v103, 0xba62, v137
	v_fma_f16 v108, v104, 0x2de8, -v120
	v_sub_f16_e32 v105, v55, v58
	v_mul_f16_e32 v121, 0x2de8, v158
	v_sub_f16_e32 v164, v89, v88
	v_mul_f16_e32 v140, 0xb1e1, v163
	v_mul_f16_e32 v141, 0xbbdd, v158
	v_add_f16_e32 v160, v88, v89
	v_add_f16_e32 v79, v106, v79
	;; [unrolled: 1-line block ×4, first 2 shown]
	v_fmamk_f16 v108, v105, 0xbbf7, v121
	v_add_f16_e32 v106, v57, v56
	v_mul_f16_e32 v122, 0xbbb2, v164
	v_fma_f16 v109, v104, 0xbbdd, -v140
	v_fmamk_f16 v110, v105, 0xb1e1, v141
	v_sub_f16_e32 v107, v56, v57
	v_mul_f16_e32 v123, 0xb461, v160
	v_add_f16_e32 v161, v90, v87
	v_fma_f16 v111, v106, 0xb461, -v122
	v_add_f16_e32 v46, v108, v46
	v_add_f16_e32 v79, v109, v79
	;; [unrolled: 1-line block ×3, first 2 shown]
	v_fmamk_f16 v110, v107, 0xbbb2, v123
	v_sub_f16_e32 v168, v87, v90
	v_mul_f16_e32 v145, 0x3836, v164
	v_mul_f16_e32 v147, 0xbacd, v160
	v_sub_f16_e32 v109, v49, v62
	v_mul_f16_e32 v125, 0xb8d2, v161
	v_add_f16_e32 v41, v111, v41
	v_add_f16_e32 v108, v62, v49
	v_mul_f16_e32 v124, 0xba62, v168
	v_fma_f16 v111, v106, 0xbacd, -v145
	v_fmamk_f16 v112, v107, 0x3836, v147
	v_add_f16_e32 v46, v110, v46
	v_fmamk_f16 v110, v109, 0xba62, v125
	v_mul_f16_e32 v138, 0x3bb2, v168
	v_sub_f16_e32 v169, v81, v92
	v_add_f16_e32 v165, v92, v81
	v_fma_f16 v113, v108, 0xb8d2, -v124
	v_add_f16_e32 v79, v111, v79
	v_add_f16_e32 v80, v112, v80
	;; [unrolled: 1-line block ×3, first 2 shown]
	v_mul_f16_e32 v149, 0xb461, v161
	v_fma_f16 v112, v108, 0xb461, -v138
	v_add_f16_e32 v110, v61, v50
	v_mul_f16_e32 v127, 0xb836, v169
	v_sub_f16_e32 v111, v50, v61
	v_mul_f16_e32 v128, 0xbacd, v165
	v_mul_f16_e32 v139, 0x3b29, v169
	v_add_f16_e32 v41, v113, v41
	v_fmamk_f16 v113, v109, 0x3bb2, v149
	v_fma_f16 v126, v110, 0xbacd, -v127
	v_add_f16_e32 v79, v112, v79
	v_fmamk_f16 v112, v111, 0xb836, v128
	v_fma_f16 v130, v110, 0x3722, -v139
	v_mul_f16_e32 v146, 0x3722, v165
	v_sub_f16_e32 v172, v96, v94
	v_add_f16_e32 v167, v94, v96
	v_add_f16_e32 v80, v113, v80
	;; [unrolled: 1-line block ×5, first 2 shown]
	v_fmamk_f16 v79, v111, 0x3b29, v146
	v_add_f16_e32 v112, v60, v59
	v_sub_f16_e32 v113, v59, v60
	v_mul_f16_e32 v130, 0xb1e1, v172
	v_mul_f16_e32 v131, 0xbbdd, v167
	;; [unrolled: 1-line block ×4, first 2 shown]
	v_add_f16_e32 v80, v79, v80
	v_fma_f16 v79, v112, 0xbbdd, -v130
	v_fmamk_f16 v132, v113, 0xb1e1, v131
	v_fma_f16 v142, v112, 0x3b76, -v143
	v_fmamk_f16 v148, v113, 0x35c8, v144
	v_add_f16_e32 v41, v79, v41
	v_add_f16_e32 v79, v132, v46
	;; [unrolled: 1-line block ×4, first 2 shown]
	s_barrier
	buffer_gl0_inv
	s_and_saveexec_b32 s1, vcc_lo
	s_cbranch_execz .LBB0_17
; %bb.16:
	v_mul_f16_e32 v195, 0xbb29, v100
	v_mul_f16_e32 v192, 0xba62, v102
	;; [unrolled: 1-line block ×5, first 2 shown]
	v_fmamk_f16 v126, v150, 0x3722, v195
	v_fmamk_f16 v132, v151, 0xb8d2, v192
	;; [unrolled: 1-line block ×3, first 2 shown]
	v_mul_f16_e32 v197, 0x3964, v107
	v_mul_f16_e32 v179, 0xba62, v157
	v_add_f16_e32 v126, v45, v126
	v_fmamk_f16 v148, v158, 0xb461, v188
	v_mul_f16_e32 v189, 0xb5c8, v109
	v_mul_f16_e32 v178, 0x31e1, v159
	v_fmamk_f16 v154, v160, 0x39e9, v197
	v_add_f16_e32 v126, v132, v126
	v_fma_f16 v132, v98, 0x3722, -v180
	v_mul_f16_e32 v187, 0xbbf7, v111
	v_mul_f16_e32 v177, 0x3bb2, v163
	;; [unrolled: 1-line block ×3, first 2 shown]
	v_add_f16_e32 v126, v142, v126
	v_fma_f16 v142, v99, 0xb8d2, -v179
	v_add_f16_e32 v132, v47, v132
	v_mul_f16_e32 v173, 0xba62, v100
	v_mul_f16_e32 v175, 0xb5c8, v168
	v_add_f16_e32 v126, v148, v126
	v_fma_f16 v148, v101, 0xbbdd, -v178
	v_add_f16_e32 v132, v142, v132
	v_fmamk_f16 v142, v161, 0x3b76, v189
	v_mul_f16_e32 v181, 0x3bb2, v102
	v_add_f16_e32 v126, v154, v126
	v_fma_f16 v154, v104, 0xb461, -v177
	v_add_f16_e32 v132, v148, v132
	v_fmamk_f16 v148, v165, 0x2de8, v187
	;; [unrolled: 5-line block ×3, first 2 shown]
	v_mul_f16_e32 v190, 0xb5c8, v103
	v_add_f16_e32 v126, v148, v126
	v_fmamk_f16 v148, v150, 0xb8d2, v173
	v_add_f16_e32 v132, v142, v132
	v_fma_f16 v142, v108, 0x3b76, -v175
	v_mul_f16_e32 v200, 0xb836, v113
	v_mul_f16_e32 v198, 0xb836, v105
	v_add_f16_e32 v148, v45, v148
	v_mul_f16_e32 v208, 0xba62, v155
	v_add_f16_e32 v132, v142, v132
	v_fma_f16 v142, v110, 0x2de8, -v176
	v_fmamk_f16 v162, v167, 0xbacd, v200
	v_add_f16_e32 v148, v154, v148
	v_fmamk_f16 v154, v156, 0x3b76, v190
	v_mul_f16_e32 v209, 0x3bf7, v107
	v_add_f16_e32 v132, v142, v132
	v_mul_f16_e32 v210, 0x3bb2, v157
	v_add_f16_e32 v126, v162, v126
	v_add_f16_e32 v142, v154, v148
	v_fmamk_f16 v148, v158, 0xbacd, v198
	v_fma_f16 v154, v98, 0xb8d2, -v208
	v_mul_f16_e32 v182, 0xb836, v172
	v_mul_f16_e32 v211, 0xb964, v109
	v_fma_f16 v162, v99, 0xb461, -v210
	v_add_f16_e32 v142, v148, v142
	v_fmamk_f16 v148, v160, 0x2de8, v209
	v_add_f16_e32 v154, v47, v154
	v_mul_f16_e32 v212, 0xb5c8, v159
	v_mul_f16_e32 v213, 0xb1e1, v111
	;; [unrolled: 1-line block ×3, first 2 shown]
	v_add_f16_e32 v142, v148, v142
	v_fmamk_f16 v148, v161, 0x39e9, v211
	v_add_f16_e32 v154, v162, v154
	v_fma_f16 v162, v101, 0x3b76, -v212
	v_fma_f16 v166, v112, 0xbacd, -v182
	v_mul_f16_e32 v215, 0x3bf7, v164
	v_add_f16_e32 v142, v148, v142
	v_fmamk_f16 v148, v165, 0xbbdd, v213
	v_add_f16_e32 v154, v162, v154
	v_fma_f16 v162, v104, 0xbacd, -v214
	v_add_f16_e32 v132, v166, v132
	v_mul_f16_e32 v166, 0xb1e1, v100
	v_add_f16_e32 v142, v148, v142
	v_mul_f16_e32 v216, 0xb964, v168
	v_add_f16_e32 v148, v162, v154
	v_fma_f16 v154, v106, 0x2de8, -v215
	v_mul_f16_e32 v217, 0x3b29, v113
	v_fmamk_f16 v162, v150, 0xbbdd, v166
	v_mul_f16_e32 v171, 0x35c8, v102
	v_mul_f16_e32 v218, 0xb1e1, v169
	v_add_f16_e32 v148, v154, v148
	v_fma_f16 v154, v108, 0x39e9, -v216
	v_add_f16_e32 v162, v45, v162
	v_fmamk_f16 v183, v151, 0x3b76, v171
	v_mul_f16_e32 v184, 0xb836, v103
	v_fmamk_f16 v185, v167, 0x3722, v217
	v_add_f16_e32 v148, v154, v148
	v_fma_f16 v154, v110, 0xbbdd, -v218
	v_add_f16_e32 v162, v183, v162
	v_fmamk_f16 v183, v156, 0xbacd, v184
	v_mul_f16_e32 v186, 0x3964, v105
	v_add_f16_e32 v142, v185, v142
	v_mul_f16_e32 v185, 0xb1e1, v155
	v_add_f16_e32 v148, v154, v148
	v_add_f16_e32 v154, v183, v162
	v_fmamk_f16 v162, v158, 0x39e9, v186
	v_mul_f16_e32 v183, 0xba62, v107
	v_mul_f16_e32 v219, 0x3b29, v172
	v_fma_f16 v193, v98, 0xbbdd, -v185
	v_mul_f16_e32 v194, 0x35c8, v157
	v_add_f16_e32 v154, v162, v154
	v_fmamk_f16 v162, v160, 0xb8d2, v183
	v_mul_f16_e32 v196, 0x3b29, v109
	v_add_f16_e32 v193, v47, v193
	v_fma_f16 v199, v99, 0x3b76, -v194
	v_mul_f16_e32 v201, 0xb836, v159
	v_fma_f16 v202, v112, 0x3722, -v219
	v_add_f16_e32 v154, v162, v154
	v_fmamk_f16 v162, v161, 0x3722, v196
	v_add_f16_e32 v193, v199, v193
	v_fma_f16 v199, v101, 0xbacd, -v201
	v_mul_f16_e32 v203, 0x3964, v163
	v_add_f16_e32 v148, v202, v148
	v_mul_f16_e32 v202, 0xbbb2, v111
	v_fma_f16 v166, v150, 0xbbdd, -v166
	v_add_f16_e32 v154, v162, v154
	v_add_f16_e32 v162, v199, v193
	v_fma_f16 v193, v104, 0x39e9, -v203
	v_mul_f16_e32 v199, 0xba62, v164
	v_fmamk_f16 v204, v165, 0xb461, v202
	v_mul_f16_e32 v205, 0x3bf7, v113
	v_add_f16_e32 v166, v45, v166
	v_fma_f16 v171, v151, 0x3b76, -v171
	v_add_f16_e32 v162, v193, v162
	v_fma_f16 v193, v106, 0xb8d2, -v199
	v_mul_f16_e32 v206, 0x3b29, v168
	v_add_f16_e32 v154, v204, v154
	v_fmamk_f16 v204, v167, 0x2de8, v205
	v_add_f16_e32 v166, v171, v166
	v_fma_f16 v171, v156, 0xbacd, -v184
	v_add_f16_e32 v162, v193, v162
	v_fma_f16 v193, v108, 0x3722, -v206
	v_add_f16_e32 v154, v204, v154
	v_mul_f16_e32 v204, 0xbbb2, v169
	v_fmac_f16_e32 v185, 0xbbdd, v98
	v_add_f16_e32 v166, v171, v166
	v_fma_f16 v171, v158, 0x39e9, -v186
	v_add_f16_e32 v162, v193, v162
	v_fma_f16 v184, v110, 0xb461, -v204
	v_mul_f16_e32 v207, 0x3bf7, v172
	v_add_f16_e32 v185, v47, v185
	v_fmac_f16_e32 v194, 0x3b76, v99
	v_add_f16_e32 v166, v171, v166
	v_fma_f16 v171, v160, 0xb8d2, -v183
	v_add_f16_e32 v162, v184, v162
	v_fma_f16 v183, v112, 0x2de8, -v207
	v_add_f16_e32 v184, v194, v185
	v_fmac_f16_e32 v201, 0xbacd, v101
	v_add_f16_e32 v166, v171, v166
	v_fma_f16 v171, v161, 0x3722, -v196
	v_mul_f16_e32 v196, 0xbacd, v150
	v_add_f16_e32 v162, v183, v162
	v_add_f16_e32 v184, v201, v184
	v_fmac_f16_e32 v203, 0x39e9, v104
	v_add_f16_e32 v166, v171, v166
	v_fmamk_f16 v171, v100, 0x3836, v196
	v_mul_f16_e32 v183, 0x3722, v151
	v_fma_f16 v185, v165, 0xb461, -v202
	v_add_f16_e32 v186, v203, v184
	v_fmac_f16_e32 v199, 0xb8d2, v106
	v_add_f16_e32 v171, v45, v171
	v_fmamk_f16 v193, v102, 0xbb29, v183
	v_mul_f16_e32 v184, 0x2de8, v156
	v_add_f16_e32 v166, v185, v166
	v_add_f16_e32 v186, v199, v186
	v_fmac_f16_e32 v206, 0x3722, v108
	v_add_f16_e32 v171, v193, v171
	v_fmamk_f16 v193, v103, 0x3bf7, v184
	v_mul_f16_e32 v185, 0xb8d2, v158
	v_fma_f16 v194, v167, 0x2de8, -v205
	v_add_f16_e32 v199, v206, v186
	v_mul_f16_e32 v186, 0x3b76, v160
	v_add_f16_e32 v171, v193, v171
	v_fmamk_f16 v193, v105, 0xba62, v185
	v_mul_f16_e32 v203, 0xb836, v155
	v_fmac_f16_e32 v204, 0xb461, v110
	v_add_f16_e32 v166, v194, v166
	v_fmamk_f16 v194, v107, 0x35c8, v186
	v_add_f16_e32 v171, v193, v171
	v_mul_f16_e32 v193, 0xbbdd, v161
	v_fmamk_f16 v201, v98, 0xbacd, v203
	v_mul_f16_e32 v205, 0x3b29, v157
	v_add_f16_e32 v199, v204, v199
	v_add_f16_e32 v171, v194, v171
	v_fmamk_f16 v202, v109, 0x31e1, v193
	v_mul_f16_e32 v194, 0x39e9, v165
	v_add_f16_e32 v204, v47, v201
	v_fmamk_f16 v206, v99, 0x3722, v205
	v_mul_f16_e32 v201, 0xbbf7, v159
	v_fma_f16 v173, v150, 0xb8d2, -v173
	v_fmac_f16_e32 v207, 0x2de8, v112
	v_add_f16_e32 v220, v202, v171
	v_fmamk_f16 v221, v111, 0xb964, v194
	v_add_f16_e32 v204, v206, v204
	v_fmamk_f16 v206, v101, 0x2de8, v201
	v_mul_f16_e32 v202, 0x3a62, v163
	v_add_f16_e32 v173, v45, v173
	v_fma_f16 v181, v151, 0xb461, -v181
	v_add_f16_e32 v171, v207, v199
	v_add_f16_e32 v207, v221, v220
	v_mul_f16_e32 v199, 0xb461, v167
	v_add_f16_e32 v204, v206, v204
	v_fmamk_f16 v220, v104, 0xb8d2, v202
	v_mul_f16_e32 v206, 0xb5c8, v164
	v_add_f16_e32 v181, v181, v173
	v_fma_f16 v190, v156, 0x3b76, -v190
	v_fmac_f16_e32 v208, 0xb8d2, v98
	v_fmamk_f16 v221, v113, 0x3bb2, v199
	v_add_f16_e32 v220, v220, v204
	v_fmamk_f16 v222, v106, 0x3b76, v206
	v_mul_f16_e32 v204, 0xb1e1, v168
	v_add_f16_e32 v181, v190, v181
	v_fma_f16 v190, v158, 0xbacd, -v198
	v_add_f16_e32 v198, v47, v208
	v_fmac_f16_e32 v210, 0xb461, v99
	v_add_f16_e32 v173, v221, v207
	v_add_f16_e32 v220, v222, v220
	v_fmamk_f16 v221, v108, 0xbbdd, v204
	v_mul_f16_e32 v207, 0x3964, v169
	v_add_f16_e32 v198, v210, v198
	v_fmac_f16_e32 v212, 0x3b76, v101
	v_add_f16_e32 v181, v190, v181
	v_add_f16_e32 v208, v221, v220
	v_fma_f16 v190, v160, 0x2de8, -v209
	v_fmamk_f16 v220, v110, 0x39e9, v207
	v_mul_f16_e32 v209, 0xbbb2, v172
	v_add_f16_e32 v198, v212, v198
	v_fmac_f16_e32 v214, 0xbacd, v104
	v_add_f16_e32 v181, v190, v181
	v_fma_f16 v190, v161, 0x39e9, -v211
	v_add_f16_e32 v208, v220, v208
	v_fmamk_f16 v210, v112, 0xb461, v209
	v_mul_f16_e32 v220, 0xb461, v150
	v_add_f16_e32 v198, v214, v198
	v_fmac_f16_e32 v215, 0x2de8, v106
	v_add_f16_e32 v190, v190, v181
	v_fma_f16 v211, v165, 0xbbdd, -v213
	v_add_f16_e32 v181, v210, v208
	;; [unrolled: 7-line block ×3, first 2 shown]
	v_fmamk_f16 v211, v102, 0xb836, v221
	v_mul_f16_e32 v217, 0x39e9, v156
	v_add_f16_e32 v198, v216, v198
	v_fmac_f16_e32 v218, 0xbbdd, v110
	v_add_f16_e32 v190, v210, v190
	v_add_f16_e32 v208, v211, v208
	v_fmamk_f16 v210, v103, 0xb964, v217
	v_mul_f16_e32 v222, 0x3722, v158
	v_add_f16_e32 v198, v218, v198
	v_mul_f16_e32 v218, 0xbbb2, v155
	v_fmac_f16_e32 v219, 0x3722, v112
	v_add_f16_e32 v208, v210, v208
	v_fmamk_f16 v210, v105, 0x3b29, v222
	v_mul_f16_e32 v223, 0xbbdd, v160
	v_fmamk_f16 v211, v98, 0xb461, v218
	v_mul_f16_e32 v216, 0x3836, v157
	v_add_f16_e32 v198, v219, v198
	v_add_f16_e32 v208, v210, v208
	v_fmamk_f16 v212, v107, 0x31e1, v223
	v_mul_f16_e32 v219, 0x2de8, v161
	v_add_f16_e32 v211, v47, v211
	v_fmamk_f16 v213, v99, 0xbacd, v216
	v_mul_f16_e32 v210, 0x3964, v159
	;; [unrolled: 3-line block ×10, first 2 shown]
	v_add_f16_e32 v230, v45, v215
	v_mul_f16_e32 v215, 0xba62, v172
	v_add_f16_e32 v48, v48, v47
	v_add_f16_e32 v227, v229, v227
	v_fmamk_f16 v229, v110, 0x3b76, v214
	v_mul_f16_e32 v157, 0xb1e1, v157
	v_mul_f16_e32 v159, 0x3bb2, v159
	v_add_f16_e32 v48, v53, v48
	v_mul_f16_e32 v228, 0xbbdd, v151
	v_add_f16_e32 v227, v229, v227
	v_fmamk_f16 v229, v112, 0xb8d2, v215
	v_fmamk_f16 v236, v99, 0xbbdd, v157
	v_add_f16_e32 v48, v54, v48
	v_mul_f16_e32 v163, 0x35c8, v163
	v_fma_f16 v150, v150, 0x3722, -v195
	v_add_f16_e32 v155, v229, v227
	v_fmamk_f16 v227, v98, 0x2de8, v234
	v_add_f16_e32 v48, v55, v48
	v_fmamk_f16 v231, v102, 0x31e1, v228
	v_mul_f16_e32 v232, 0xb461, v156
	v_add_f16_e32 v150, v45, v150
	v_add_f16_e32 v227, v47, v227
	v_fma_f16 v151, v151, 0xb8d2, -v192
	v_mul_f16_e32 v164, 0xbb29, v164
	v_add_f16_e32 v48, v56, v48
	v_add_f16_e32 v230, v231, v230
	;; [unrolled: 1-line block ×3, first 2 shown]
	v_fmamk_f16 v236, v101, 0xb461, v159
	v_fmamk_f16 v231, v103, 0xbbb2, v232
	v_mul_f16_e32 v233, 0x3b76, v158
	v_add_f16_e32 v150, v151, v150
	v_fmamk_f16 v151, v106, 0x3722, v164
	v_add_f16_e32 v227, v236, v227
	v_fmamk_f16 v236, v104, 0x3b76, v163
	v_mul_f16_e32 v168, 0xb836, v168
	v_fma_f16 v156, v156, 0xbbdd, -v191
	v_add_f16_e32 v53, v97, v45
	v_add_f16_e32 v48, v49, v48
	v_add_f16_e32 v227, v236, v227
	v_mul_f16_e32 v153, 0xb5c8, v100
	v_add_f16_e32 v230, v231, v230
	v_fmamk_f16 v231, v105, 0xb5c8, v233
	v_mul_f16_e32 v235, 0x3722, v160
	v_add_f16_e32 v151, v151, v227
	v_fmamk_f16 v227, v108, 0xbacd, v168
	v_add_f16_e32 v150, v156, v150
	v_fma_f16 v158, v158, 0xb461, -v188
	v_mul_f16_e32 v169, 0x3a62, v169
	v_add_f16_e32 v53, v95, v53
	v_add_f16_e32 v48, v50, v48
	;; [unrolled: 1-line block ×3, first 2 shown]
	v_fmamk_f16 v230, v107, 0x3b29, v235
	v_mul_f16_e32 v231, 0xbacd, v161
	v_mul_f16_e32 v192, 0xb964, v102
	v_add_f16_e32 v151, v227, v151
	v_add_f16_e32 v150, v158, v150
	v_fmamk_f16 v158, v110, 0xb8d2, v169
	v_mul_f16_e32 v172, 0x3964, v172
	v_fma_f16 v160, v160, 0x39e9, -v197
	v_add_f16_e32 v53, v93, v53
	v_sub_f16_e32 v55, v115, v153
	v_add_f16_e32 v48, v59, v48
	v_mul_f16_e32 v152, 0x3b76, v98
	v_add_f16_e32 v229, v230, v229
	v_fmamk_f16 v230, v109, 0x3836, v231
	v_mul_f16_e32 v197, 0xbb29, v103
	v_add_f16_e32 v151, v158, v151
	v_fmamk_f16 v158, v112, 0x39e9, v172
	v_add_f16_e32 v150, v160, v150
	v_fma_f16 v161, v161, 0x3b76, -v189
	v_add_f16_e32 v53, v91, v53
	v_add_f16_e32 v55, v45, v55
	v_sub_f16_e32 v91, v117, v192
	v_add_f16_e32 v48, v60, v48
	v_mul_f16_e32 v195, 0x39e9, v99
	v_add_f16_e32 v229, v230, v229
	v_mul_f16_e32 v230, 0xb8d2, v165
	;; [unrolled: 2-line block ×3, first 2 shown]
	v_add_f16_e32 v150, v161, v150
	v_fma_f16 v165, v165, 0x2de8, -v187
	v_add_f16_e32 v56, v152, v114
	v_add_f16_e32 v55, v91, v55
	v_sub_f16_e32 v50, v119, v197
	v_add_f16_e32 v48, v61, v48
	v_mul_f16_e32 v170, 0x39e9, v98
	v_mul_f16_e32 v237, 0xb964, v100
	;; [unrolled: 1-line block ×3, first 2 shown]
	v_fmac_f16_e32 v180, 0x3722, v98
	v_add_f16_e32 v150, v165, v150
	v_mul_f16_e32 v165, 0xbbb2, v107
	v_add_f16_e32 v49, v89, v53
	v_add_f16_e32 v53, v47, v56
	;; [unrolled: 1-line block ×4, first 2 shown]
	v_sub_f16_e32 v55, v121, v158
	v_add_f16_e32 v48, v62, v48
	v_mul_f16_e32 v191, 0x2de8, v99
	v_mul_f16_e32 v189, 0x2de8, v104
	v_add_f16_e32 v180, v47, v180
	v_fmac_f16_e32 v179, 0xb8d2, v99
	v_sub_f16_e32 v134, v134, v237
	v_mul_f16_e32 v237, 0xba62, v109
	v_add_f16_e32 v129, v170, v129
	v_add_f16_e32 v53, v56, v53
	;; [unrolled: 1-line block ×4, first 2 shown]
	v_sub_f16_e32 v55, v123, v165
	v_add_f16_e32 v48, v57, v48
	v_fmamk_f16 v236, v111, 0xba62, v230
	v_mul_f16_e32 v156, 0x39e9, v167
	v_add_f16_e32 v179, v179, v180
	v_mul_f16_e32 v180, 0xb461, v106
	v_fma_f16 v167, v167, 0xbacd, -v200
	v_add_f16_e32 v133, v191, v133
	v_mul_f16_e32 v191, 0xb836, v111
	v_add_f16_e32 v129, v47, v129
	v_add_f16_e32 v53, v56, v53
	;; [unrolled: 1-line block ×4, first 2 shown]
	v_sub_f16_e32 v55, v125, v237
	v_add_f16_e32 v48, v58, v48
	v_add_f16_e32 v229, v236, v229
	v_mul_f16_e32 v236, 0xbbf7, v102
	v_add_f16_e32 v150, v167, v150
	v_mul_f16_e32 v167, 0xb8d2, v108
	;; [unrolled: 2-line block ×3, first 2 shown]
	v_add_f16_e32 v53, v56, v53
	v_add_f16_e32 v56, v180, v122
	;; [unrolled: 1-line block ×3, first 2 shown]
	v_sub_f16_e32 v55, v128, v191
	v_add_f16_e32 v48, v51, v48
	v_sub_f16_e32 v135, v135, v236
	v_mul_f16_e32 v236, 0xbacd, v110
	v_add_f16_e32 v53, v56, v53
	v_add_f16_e32 v56, v167, v124
	;; [unrolled: 1-line block ×3, first 2 shown]
	v_sub_f16_e32 v55, v131, v133
	v_add_f16_e32 v48, v52, v48
	v_fma_f16 v52, v98, 0xbacd, -v203
	v_add_f16_e32 v53, v56, v53
	v_add_f16_e32 v56, v236, v127
	;; [unrolled: 1-line block ×3, first 2 shown]
	v_fma_f16 v55, v99, 0x3722, -v205
	v_add_f16_e32 v52, v47, v52
	v_fmac_f16_e32 v220, 0xbbb2, v100
	v_add_f16_e32 v51, v56, v53
	v_fmac_f16_e32 v221, 0x3836, v102
	v_fmac_f16_e32 v217, 0x3964, v103
	v_add_f16_e32 v52, v55, v52
	v_fma_f16 v55, v101, 0x2de8, -v201
	v_add_f16_e32 v56, v45, v220
	v_fmac_f16_e32 v178, 0xbbdd, v101
	v_fmac_f16_e32 v222, 0xbb29, v105
	v_add_f16_e32 v49, v87, v49
	v_add_f16_e32 v52, v55, v52
	v_fma_f16 v55, v104, 0xb8d2, -v202
	v_add_f16_e32 v56, v221, v56
	v_add_f16_e32 v178, v178, v179
	v_fmac_f16_e32 v177, 0xb461, v104
	v_fmac_f16_e32 v223, 0xb1e1, v107
	v_add_f16_e32 v52, v55, v52
	v_fma_f16 v55, v106, 0x3b76, -v206
	v_add_f16_e32 v56, v217, v56
	v_add_f16_e32 v49, v81, v49
	;; [unrolled: 1-line block ×3, first 2 shown]
	v_fmac_f16_e32 v174, 0x39e9, v106
	v_add_f16_e32 v52, v55, v52
	v_fma_f16 v55, v108, 0xbbdd, -v204
	v_add_f16_e32 v56, v222, v56
	v_fmac_f16_e32 v219, 0x3bf7, v109
	v_add_f16_e32 v49, v96, v49
	v_fmamk_f16 v227, v113, 0xb964, v156
	v_add_f16_e32 v52, v55, v52
	v_fma_f16 v55, v110, 0x39e9, -v207
	v_add_f16_e32 v56, v223, v56
	v_add_f16_e32 v174, v174, v177
	v_mul_f16_e32 v177, 0xbbdd, v112
	v_fmac_f16_e32 v224, 0xb5c8, v111
	v_add_f16_e32 v52, v55, v52
	v_fma_f16 v55, v112, 0xb461, -v209
	v_add_f16_e32 v56, v219, v56
	v_fma_f16 v57, v98, 0xb461, -v218
	v_add_f16_e32 v49, v94, v49
	v_add_f16_e32 v227, v227, v229
	v_mul_f16_e32 v229, 0xb8d2, v101
	v_mul_f16_e32 v160, 0xba62, v103
	v_add_f16_e32 v134, v45, v134
	v_add_f16_e32 v53, v177, v130
	v_fmac_f16_e32 v196, 0xb836, v100
	v_add_f16_e32 v52, v55, v52
	v_fmac_f16_e32 v226, 0xbbf7, v100
	v_add_f16_e32 v55, v224, v56
	v_add_f16_e32 v56, v47, v57
	v_fma_f16 v57, v99, 0xbacd, -v216
	v_fma_f16 v58, v98, 0x2de8, -v234
	v_add_f16_e32 v49, v92, v49
	v_mul_f16_e32 v161, 0xbbdd, v104
	v_mul_f16_e32 v187, 0xb1e1, v105
	v_add_f16_e32 v134, v135, v134
	v_sub_f16_e32 v137, v137, v160
	v_add_f16_e32 v136, v229, v136
	v_add_f16_e32 v51, v53, v51
	v_add_f16_e32 v53, v45, v196
	v_fmac_f16_e32 v183, 0x3b29, v102
	v_add_f16_e32 v45, v45, v226
	v_fmac_f16_e32 v228, 0xb1e1, v102
	v_add_f16_e32 v56, v57, v56
	v_fma_f16 v57, v101, 0x39e9, -v210
	v_add_f16_e32 v47, v47, v58
	v_fma_f16 v58, v99, 0xbbdd, -v157
	v_add_f16_e32 v49, v90, v49
	v_mul_f16_e32 v200, 0xbacd, v106
	v_mul_f16_e32 v179, 0x3836, v107
	v_add_f16_e32 v134, v137, v134
	v_sub_f16_e32 v141, v141, v187
	v_add_f16_e32 v129, v136, v129
	v_add_f16_e32 v136, v161, v140
	v_add_f16_e32 v53, v183, v53
	v_fmac_f16_e32 v184, 0xbbf7, v103
	v_add_f16_e32 v45, v228, v45
	v_fmac_f16_e32 v232, 0x3bb2, v103
	v_add_f16_e32 v56, v57, v56
	v_fma_f16 v57, v104, 0x3722, -v211
	v_add_f16_e32 v47, v58, v47
	;; [unrolled: 15-line block ×3, first 2 shown]
	v_fma_f16 v58, v104, 0x3b76, -v163
	v_add_f16_e32 v49, v86, v49
	v_mul_f16_e32 v135, 0x3722, v110
	v_mul_f16_e32 v160, 0x3b29, v111
	v_fmac_f16_e32 v175, 0x3b76, v108
	v_add_f16_e32 v134, v140, v134
	v_sub_f16_e32 v140, v149, v170
	v_add_f16_e32 v129, v136, v129
	v_add_f16_e32 v136, v178, v138
	;; [unrolled: 1-line block ×3, first 2 shown]
	v_fmac_f16_e32 v186, 0xb5c8, v107
	v_add_f16_e32 v45, v233, v45
	v_fmac_f16_e32 v235, 0xbb29, v107
	v_add_f16_e32 v56, v57, v56
	v_fma_f16 v57, v108, 0x2de8, -v213
	v_add_f16_e32 v47, v58, v47
	v_fma_f16 v58, v106, 0x3722, -v164
	v_add_f16_e32 v49, v82, v49
	v_mul_f16_e32 v229, 0x3b76, v112
	v_mul_f16_e32 v137, 0x35c8, v113
	v_add_f16_e32 v174, v175, v174
	v_fmac_f16_e32 v176, 0x2de8, v110
	v_add_f16_e32 v134, v140, v134
	v_sub_f16_e32 v138, v146, v160
	v_add_f16_e32 v97, v136, v129
	v_add_f16_e32 v129, v135, v139
	;; [unrolled: 1-line block ×3, first 2 shown]
	v_fmac_f16_e32 v193, 0xb1e1, v109
	v_add_f16_e32 v45, v235, v45
	v_fmac_f16_e32 v231, 0xb836, v109
	v_add_f16_e32 v56, v57, v56
	v_fma_f16 v57, v110, 0x3b76, -v214
	v_add_f16_e32 v47, v58, v47
	v_fma_f16 v58, v108, 0xbacd, -v168
	v_add_f16_e32 v49, v85, v49
	v_add_f16_e32 v141, v176, v174
	v_fmac_f16_e32 v182, 0xbacd, v112
	v_add_f16_e32 v134, v138, v134
	v_sub_f16_e32 v54, v144, v137
	v_add_f16_e32 v95, v129, v97
	v_add_f16_e32 v97, v229, v143
	;; [unrolled: 1-line block ×3, first 2 shown]
	v_fmac_f16_e32 v194, 0x3964, v111
	v_add_f16_e32 v45, v231, v45
	v_fmac_f16_e32 v230, 0x3a62, v111
	v_add_f16_e32 v56, v57, v56
	v_fma_f16 v57, v112, 0xb8d2, -v215
	v_add_f16_e32 v47, v58, v47
	v_fma_f16 v58, v110, 0xb8d2, -v169
	v_add_f16_e32 v48, v83, v48
	v_add_f16_e32 v49, v84, v49
	v_mul_lo_u16 v59, v64, 17
	v_mov_b32_e32 v60, 2
	v_add_f16_e32 v141, v182, v141
	v_add_f16_e32 v54, v54, v134
	;; [unrolled: 1-line block ×4, first 2 shown]
	v_fmac_f16_e32 v199, 0xbbb2, v113
	v_fmac_f16_e32 v225, 0xba62, v113
	v_add_f16_e32 v45, v230, v45
	v_fmac_f16_e32 v156, 0x3964, v113
	v_add_f16_e32 v56, v57, v56
	v_add_f16_e32 v47, v58, v47
	v_fma_f16 v57, v112, 0x39e9, -v172
	v_lshlrev_b32_sdwa v58, v60, v59 dst_sel:DWORD dst_unused:UNUSED_PAD src0_sel:DWORD src1_sel:WORD_0
	v_pack_b32_f16 v50, v51, v50
	v_pack_b32_f16 v48, v48, v49
	v_add_f16_e32 v53, v199, v53
	v_pack_b32_f16 v49, v93, v54
	v_pack_b32_f16 v51, v141, v150
	v_add_f16_e32 v55, v225, v55
	v_add_f16_e32 v45, v156, v45
	v_pack_b32_f16 v54, v155, v208
	v_pack_b32_f16 v59, v151, v227
	v_add_f16_e32 v47, v57, v47
	v_pack_b32_f16 v60, v181, v173
	v_pack_b32_f16 v61, v198, v190
	ds_write2_b32 v58, v48, v50 offset1:1
	ds_write2_b32 v58, v49, v51 offset0:2 offset1:3
	ds_write2_b32 v58, v59, v54 offset0:4 offset1:5
	;; [unrolled: 1-line block ×3, first 2 shown]
	v_pack_b32_f16 v48, v162, v154
	v_pack_b32_f16 v49, v171, v166
	;; [unrolled: 1-line block ×7, first 2 shown]
	v_perm_b32 v53, v80, v46, 0x5040100
	v_perm_b32 v54, v79, v41, 0x5040100
	ds_write2_b32 v58, v49, v48 offset0:8 offset1:9
	ds_write2_b32 v58, v51, v50 offset0:10 offset1:11
	;; [unrolled: 1-line block ×4, first 2 shown]
	ds_write_b32 v58, v54 offset:64
.LBB0_17:
	s_or_b32 exec_lo, exec_lo, s1
	v_add_nc_u32_e32 v47, 0x600, v65
	v_add_nc_u32_e32 v48, 0x1200, v65
	s_waitcnt lgkmcnt(0)
	s_barrier
	buffer_gl0_inv
	ds_read2_b32 v[55:56], v47 offset0:92 offset1:211
	v_add_nc_u32_e32 v49, 0xa00, v65
	ds_read2_b32 v[53:54], v65 offset1:119
	ds_read_b32 v45, v65 offset:6664
	ds_read2_b32 v[57:58], v48 offset0:38 offset1:157
	v_add_nc_u32_e32 v50, 0x200, v65
	v_add_nc_u32_e32 v51, 0x1600, v65
	ds_read2_b32 v[59:60], v49 offset0:74 offset1:193
	v_add_nc_u32_e32 v52, 0xe00, v65
	ds_read2_b32 v[61:62], v50 offset0:110 offset1:229
	ds_read2_b32 v[81:82], v51 offset0:20 offset1:139
	;; [unrolled: 1-line block ×3, first 2 shown]
	s_waitcnt lgkmcnt(0)
	s_barrier
	buffer_gl0_inv
	v_lshrrev_b32_e32 v88, 16, v56
	v_mul_f16_sdwa v100, v33, v56 dst_sel:DWORD dst_unused:UNUSED_PAD src0_sel:WORD_1 src1_sel:DWORD
	v_lshrrev_b32_e32 v87, 16, v45
	v_lshrrev_b32_e32 v89, 16, v57
	;; [unrolled: 1-line block ×3, first 2 shown]
	v_mul_f16_sdwa v98, v33, v88 dst_sel:DWORD dst_unused:UNUSED_PAD src0_sel:WORD_1 src1_sel:DWORD
	v_lshrrev_b32_e32 v90, 16, v59
	v_lshrrev_b32_e32 v93, 16, v60
	v_mul_f16_sdwa v102, v34, v89 dst_sel:DWORD dst_unused:UNUSED_PAD src0_sel:WORD_1 src1_sel:DWORD
	v_lshrrev_b32_e32 v94, 16, v81
	v_fmac_f16_e32 v98, v33, v56
	v_mul_f16_sdwa v56, v34, v57 dst_sel:DWORD dst_unused:UNUSED_PAD src0_sel:WORD_1 src1_sel:DWORD
	v_fma_f16 v33, v33, v88, -v100
	v_mul_f16_sdwa v88, v31, v90 dst_sel:DWORD dst_unused:UNUSED_PAD src0_sel:WORD_1 src1_sel:DWORD
	v_fmac_f16_e32 v102, v34, v57
	v_mul_f16_sdwa v57, v31, v59 dst_sel:DWORD dst_unused:UNUSED_PAD src0_sel:WORD_1 src1_sel:DWORD
	v_fma_f16 v34, v34, v89, -v56
	v_mul_f16_sdwa v56, v32, v91 dst_sel:DWORD dst_unused:UNUSED_PAD src0_sel:WORD_1 src1_sel:DWORD
	;; [unrolled: 4-line block ×3, first 2 shown]
	v_lshrrev_b32_e32 v96, 16, v83
	v_fmac_f16_e32 v56, v32, v58
	v_mul_f16_sdwa v58, v29, v60 dst_sel:DWORD dst_unused:UNUSED_PAD src0_sel:WORD_1 src1_sel:DWORD
	v_fma_f16 v32, v32, v91, -v59
	v_mul_f16_sdwa v59, v30, v94 dst_sel:DWORD dst_unused:UNUSED_PAD src0_sel:WORD_1 src1_sel:DWORD
	v_lshrrev_b32_e32 v97, 16, v82
	v_fmac_f16_e32 v57, v29, v60
	v_mul_f16_sdwa v60, v30, v81 dst_sel:DWORD dst_unused:UNUSED_PAD src0_sel:WORD_1 src1_sel:DWORD
	v_lshrrev_b32_e32 v101, 16, v84
	v_fma_f16 v29, v29, v93, -v58
	v_mul_f16_sdwa v58, v27, v96 dst_sel:DWORD dst_unused:UNUSED_PAD src0_sel:WORD_1 src1_sel:DWORD
	v_fmac_f16_e32 v59, v30, v81
	v_mul_f16_sdwa v81, v27, v83 dst_sel:DWORD dst_unused:UNUSED_PAD src0_sel:WORD_1 src1_sel:DWORD
	v_fma_f16 v30, v30, v94, -v60
	v_mul_f16_sdwa v60, v28, v97 dst_sel:DWORD dst_unused:UNUSED_PAD src0_sel:WORD_1 src1_sel:DWORD
	v_fmac_f16_e32 v58, v27, v83
	v_mul_f16_sdwa v83, v28, v82 dst_sel:DWORD dst_unused:UNUSED_PAD src0_sel:WORD_1 src1_sel:DWORD
	;; [unrolled: 4-line block ×4, first 2 shown]
	v_lshrrev_b32_e32 v85, 16, v53
	v_fma_f16 v25, v25, v101, -v82
	v_add_f16_e32 v82, v98, v102
	v_fmac_f16_e32 v83, v26, v45
	v_fma_f16 v26, v26, v87, -v84
	v_add_f16_e32 v84, v33, v34
	v_add_f16_e32 v45, v53, v98
	v_fma_f16 v53, -0.5, v82, v53
	v_sub_f16_e32 v82, v33, v34
	v_add_f16_e32 v33, v85, v33
	v_fmac_f16_e32 v85, -0.5, v84
	v_sub_f16_e32 v84, v98, v102
	v_lshrrev_b32_e32 v86, 16, v54
	v_fmamk_f16 v87, v82, 0xbaee, v53
	v_add_f16_e32 v33, v33, v34
	v_add_f16_e32 v34, v88, v56
	v_fmac_f16_e32 v53, 0x3aee, v82
	v_fmamk_f16 v82, v84, 0x3aee, v85
	v_add_f16_e32 v89, v54, v88
	v_fmac_f16_e32 v85, 0xbaee, v84
	v_add_f16_e32 v84, v31, v32
	v_fmac_f16_e32 v54, -0.5, v34
	v_sub_f16_e32 v34, v31, v32
	v_add_f16_e32 v31, v86, v31
	v_add_f16_e32 v89, v89, v56
	v_fmac_f16_e32 v86, -0.5, v84
	v_sub_f16_e32 v56, v88, v56
	v_lshrrev_b32_e32 v92, 16, v61
	v_add_f16_e32 v31, v31, v32
	v_add_f16_e32 v32, v57, v59
	v_fmamk_f16 v84, v34, 0xbaee, v54
	v_fmac_f16_e32 v54, 0x3aee, v34
	v_fmamk_f16 v34, v56, 0x3aee, v86
	v_fmac_f16_e32 v86, 0xbaee, v56
	v_add_f16_e32 v56, v29, v30
	v_add_f16_e32 v88, v61, v57
	v_fma_f16 v32, -0.5, v32, v61
	v_sub_f16_e32 v61, v29, v30
	v_add_f16_e32 v29, v92, v29
	v_fmac_f16_e32 v92, -0.5, v56
	v_sub_f16_e32 v56, v57, v59
	v_lshrrev_b32_e32 v95, 16, v62
	v_add_f16_e32 v88, v88, v59
	v_add_f16_e32 v29, v29, v30
	;; [unrolled: 1-line block ×3, first 2 shown]
	v_fmamk_f16 v59, v56, 0x3aee, v92
	v_fmac_f16_e32 v92, 0xbaee, v56
	v_add_f16_e32 v56, v27, v28
	v_fmamk_f16 v57, v61, 0xbaee, v32
	v_fmac_f16_e32 v32, 0x3aee, v61
	v_add_f16_e32 v61, v62, v58
	v_fmac_f16_e32 v62, -0.5, v30
	v_sub_f16_e32 v30, v27, v28
	v_add_f16_e32 v27, v95, v27
	v_fmac_f16_e32 v95, -0.5, v56
	v_sub_f16_e32 v56, v58, v60
	v_lshrrev_b32_e32 v99, 16, v55
	v_fmamk_f16 v58, v30, 0xbaee, v62
	v_add_f16_e32 v27, v27, v28
	v_add_f16_e32 v28, v81, v83
	v_fmac_f16_e32 v62, 0x3aee, v30
	v_fmamk_f16 v30, v56, 0x3aee, v95
	v_fmac_f16_e32 v95, 0xbaee, v56
	v_add_f16_e32 v56, v25, v26
	v_add_f16_e32 v45, v45, v102
	;; [unrolled: 1-line block ×4, first 2 shown]
	v_fmac_f16_e32 v55, -0.5, v28
	v_sub_f16_e32 v28, v25, v26
	v_add_f16_e32 v25, v99, v25
	v_fmac_f16_e32 v99, -0.5, v56
	v_sub_f16_e32 v56, v81, v83
	v_pack_b32_f16 v31, v89, v31
	v_fmamk_f16 v81, v28, 0xbaee, v55
	v_fmac_f16_e32 v55, 0x3aee, v28
	v_pack_b32_f16 v28, v45, v33
	v_pack_b32_f16 v33, v87, v82
	;; [unrolled: 1-line block ×4, first 2 shown]
	v_add_f16_e32 v60, v60, v83
	v_add_f16_e32 v25, v25, v26
	v_fmamk_f16 v26, v56, 0x3aee, v99
	v_pack_b32_f16 v53, v54, v86
	v_fmac_f16_e32 v99, 0xbaee, v56
	v_pack_b32_f16 v29, v88, v29
	v_pack_b32_f16 v54, v57, v59
	ds_write2_b32 v72, v28, v33 offset1:17
	ds_write_b32 v72, v45 offset:136
	ds_write2_b32 v73, v31, v34 offset1:17
	ds_write_b32 v73, v53 offset:136
	ds_write2_b32 v71, v29, v54 offset1:17
	v_pack_b32_f16 v28, v32, v92
	v_pack_b32_f16 v27, v61, v27
	;; [unrolled: 1-line block ×7, first 2 shown]
	ds_write_b32 v71, v28 offset:136
	ds_write2_b32 v70, v27, v29 offset1:17
	ds_write_b32 v70, v30 offset:136
	ds_write2_b32 v69, v25, v26 offset1:17
	ds_write_b32 v69, v31 offset:136
	s_waitcnt lgkmcnt(0)
	s_barrier
	buffer_gl0_inv
	ds_read2_b32 v[25:26], v65 offset1:119
	ds_read2_b32 v[28:29], v50 offset0:110 offset1:229
	ds_read2_b32 v[30:31], v49 offset0:74 offset1:193
	;; [unrolled: 1-line block ×6, first 2 shown]
	ds_read_b32 v27, v65 offset:6664
	s_waitcnt lgkmcnt(0)
	s_barrier
	buffer_gl0_inv
	v_lshrrev_b32_e32 v34, 16, v25
	v_lshrrev_b32_e32 v45, 16, v29
	v_lshrrev_b32_e32 v59, 16, v30
	v_lshrrev_b32_e32 v60, 16, v33
	v_lshrrev_b32_e32 v61, 16, v53
	v_lshrrev_b32_e32 v69, 16, v55
	v_mul_f16_sdwa v85, v12, v45 dst_sel:DWORD dst_unused:UNUSED_PAD src0_sel:WORD_1 src1_sel:DWORD
	v_lshrrev_b32_e32 v70, 16, v31
	v_mul_f16_sdwa v86, v12, v29 dst_sel:DWORD dst_unused:UNUSED_PAD src0_sel:WORD_1 src1_sel:DWORD
	v_mul_f16_sdwa v87, v13, v59 dst_sel:DWORD dst_unused:UNUSED_PAD src0_sel:WORD_1 src1_sel:DWORD
	;; [unrolled: 1-line block ×4, first 2 shown]
	v_fmac_f16_e32 v85, v12, v29
	v_mul_f16_sdwa v29, v14, v33 dst_sel:DWORD dst_unused:UNUSED_PAD src0_sel:WORD_1 src1_sel:DWORD
	v_lshrrev_b32_e32 v71, 16, v57
	v_lshrrev_b32_e32 v72, 16, v54
	v_fma_f16 v12, v12, v45, -v86
	v_fmac_f16_e32 v87, v13, v30
	v_fma_f16 v13, v13, v59, -v88
	v_fmac_f16_e32 v89, v14, v33
	v_mul_f16_sdwa v30, v15, v61 dst_sel:DWORD dst_unused:UNUSED_PAD src0_sel:WORD_1 src1_sel:DWORD
	v_mul_f16_sdwa v33, v15, v53 dst_sel:DWORD dst_unused:UNUSED_PAD src0_sel:WORD_1 src1_sel:DWORD
	;; [unrolled: 1-line block ×4, first 2 shown]
	v_fma_f16 v14, v14, v60, -v29
	v_mul_f16_sdwa v29, v9, v70 dst_sel:DWORD dst_unused:UNUSED_PAD src0_sel:WORD_1 src1_sel:DWORD
	v_lshrrev_b32_e32 v81, 16, v56
	v_lshrrev_b32_e32 v82, 16, v32
	v_fmac_f16_e32 v30, v15, v53
	v_fma_f16 v15, v15, v61, -v33
	v_fmac_f16_e32 v45, v8, v55
	v_fma_f16 v8, v8, v69, -v59
	v_mul_f16_sdwa v33, v9, v31 dst_sel:DWORD dst_unused:UNUSED_PAD src0_sel:WORD_1 src1_sel:DWORD
	v_mul_f16_sdwa v53, v10, v71 dst_sel:DWORD dst_unused:UNUSED_PAD src0_sel:WORD_1 src1_sel:DWORD
	;; [unrolled: 1-line block ×4, first 2 shown]
	v_fmac_f16_e32 v29, v9, v31
	v_mul_f16_sdwa v31, v11, v54 dst_sel:DWORD dst_unused:UNUSED_PAD src0_sel:WORD_1 src1_sel:DWORD
	v_lshrrev_b32_e32 v83, 16, v58
	v_lshrrev_b32_e32 v84, 16, v27
	v_fma_f16 v9, v9, v70, -v33
	v_fmac_f16_e32 v53, v10, v57
	v_fma_f16 v10, v10, v71, -v55
	v_fmac_f16_e32 v59, v11, v54
	v_mul_f16_sdwa v33, v4, v81 dst_sel:DWORD dst_unused:UNUSED_PAD src0_sel:WORD_1 src1_sel:DWORD
	v_mul_f16_sdwa v54, v4, v56 dst_sel:DWORD dst_unused:UNUSED_PAD src0_sel:WORD_1 src1_sel:DWORD
	;; [unrolled: 1-line block ×4, first 2 shown]
	v_fma_f16 v11, v11, v72, -v31
	v_add_f16_e32 v31, v87, v89
	v_fmac_f16_e32 v33, v4, v56
	v_fma_f16 v4, v4, v81, -v54
	v_fmac_f16_e32 v55, v5, v32
	v_fma_f16 v5, v5, v82, -v57
	v_mul_f16_sdwa v32, v6, v83 dst_sel:DWORD dst_unused:UNUSED_PAD src0_sel:WORD_1 src1_sel:DWORD
	v_mul_f16_sdwa v54, v6, v58 dst_sel:DWORD dst_unused:UNUSED_PAD src0_sel:WORD_1 src1_sel:DWORD
	;; [unrolled: 1-line block ×3, first 2 shown]
	v_add_f16_e32 v57, v25, v85
	v_fma_f16 v31, -0.5, v31, v25
	v_sub_f16_e32 v60, v12, v15
	v_fmac_f16_e32 v32, v6, v58
	v_fma_f16 v6, v6, v83, -v54
	v_fmac_f16_e32 v56, v7, v27
	v_add_f16_e32 v54, v57, v87
	v_fmamk_f16 v57, v60, 0xbb9c, v31
	v_sub_f16_e32 v58, v13, v14
	v_sub_f16_e32 v61, v85, v87
	;; [unrolled: 1-line block ×3, first 2 shown]
	v_add_f16_e32 v70, v85, v30
	v_mul_f16_sdwa v27, v7, v27 dst_sel:DWORD dst_unused:UNUSED_PAD src0_sel:WORD_1 src1_sel:DWORD
	v_fmac_f16_e32 v31, 0x3b9c, v60
	v_add_f16_e32 v54, v54, v89
	v_fmac_f16_e32 v57, 0xb8b4, v58
	v_add_f16_e32 v61, v61, v69
	v_fma_f16 v25, -0.5, v70, v25
	v_fma_f16 v7, v7, v84, -v27
	v_sub_f16_e32 v27, v87, v85
	v_sub_f16_e32 v70, v89, v30
	v_fmac_f16_e32 v31, 0x38b4, v58
	v_add_f16_e32 v71, v34, v12
	v_add_f16_e32 v72, v13, v14
	;; [unrolled: 1-line block ×3, first 2 shown]
	v_fmac_f16_e32 v57, 0x34f2, v61
	v_fmamk_f16 v69, v58, 0x3b9c, v25
	v_add_f16_e32 v27, v27, v70
	v_fmac_f16_e32 v25, 0xbb9c, v58
	v_add_f16_e32 v58, v71, v13
	v_fma_f16 v70, -0.5, v72, v34
	v_sub_f16_e32 v30, v85, v30
	v_fmac_f16_e32 v31, 0x34f2, v61
	v_add_f16_e32 v61, v12, v15
	v_sub_f16_e32 v72, v12, v13
	v_sub_f16_e32 v12, v13, v12
	;; [unrolled: 1-line block ×3, first 2 shown]
	v_fmac_f16_e32 v69, 0xb8b4, v60
	v_fmac_f16_e32 v25, 0x38b4, v60
	v_add_f16_e32 v58, v58, v14
	v_fmamk_f16 v60, v30, 0x3b9c, v70
	v_sub_f16_e32 v71, v87, v89
	v_sub_f16_e32 v81, v15, v14
	v_fmac_f16_e32 v34, -0.5, v61
	v_fmac_f16_e32 v70, 0xbb9c, v30
	v_add_f16_e32 v14, v29, v53
	v_add_f16_e32 v12, v12, v13
	v_add_f16_e32 v13, v26, v45
	v_lshrrev_b32_e32 v62, 16, v26
	v_fmac_f16_e32 v69, 0x34f2, v27
	v_fmac_f16_e32 v25, 0x34f2, v27
	v_add_f16_e32 v58, v58, v15
	v_fmac_f16_e32 v60, 0x38b4, v71
	v_add_f16_e32 v27, v72, v81
	v_fmamk_f16 v61, v71, 0xbb9c, v34
	v_fmac_f16_e32 v70, 0xb8b4, v71
	v_fma_f16 v14, -0.5, v14, v26
	v_sub_f16_e32 v15, v8, v11
	v_fmac_f16_e32 v34, 0x3b9c, v71
	v_add_f16_e32 v13, v13, v29
	v_add_f16_e32 v82, v45, v59
	v_fmac_f16_e32 v60, 0x34f2, v27
	v_fmac_f16_e32 v61, 0x38b4, v30
	;; [unrolled: 1-line block ×3, first 2 shown]
	v_fmamk_f16 v71, v15, 0xbb9c, v14
	v_sub_f16_e32 v27, v9, v10
	v_sub_f16_e32 v72, v45, v29
	v_sub_f16_e32 v81, v59, v53
	v_fmac_f16_e32 v34, 0xb8b4, v30
	v_add_f16_e32 v13, v13, v53
	v_fmac_f16_e32 v26, -0.5, v82
	v_fmac_f16_e32 v14, 0x3b9c, v15
	v_add_f16_e32 v82, v62, v8
	v_fmac_f16_e32 v61, 0x34f2, v12
	v_fmac_f16_e32 v71, 0xb8b4, v27
	v_add_f16_e32 v30, v72, v81
	v_fmac_f16_e32 v34, 0x34f2, v12
	v_add_f16_e32 v12, v13, v59
	v_fmamk_f16 v13, v27, 0x3b9c, v26
	v_sub_f16_e32 v72, v29, v45
	v_sub_f16_e32 v81, v53, v59
	v_fmac_f16_e32 v14, 0x38b4, v27
	v_add_f16_e32 v83, v9, v10
	v_fmac_f16_e32 v26, 0xbb9c, v27
	v_add_f16_e32 v27, v82, v9
	;; [unrolled: 2-line block ×3, first 2 shown]
	v_fma_f16 v81, -0.5, v83, v62
	v_sub_f16_e32 v59, v45, v59
	v_fmac_f16_e32 v26, 0x38b4, v15
	v_add_f16_e32 v15, v27, v10
	v_add_f16_e32 v27, v8, v11
	v_fmac_f16_e32 v71, 0x34f2, v30
	v_fmac_f16_e32 v14, 0x34f2, v30
	v_fmamk_f16 v30, v59, 0x3b9c, v81
	v_sub_f16_e32 v29, v29, v53
	v_sub_f16_e32 v45, v8, v9
	;; [unrolled: 1-line block ×3, first 2 shown]
	v_fmac_f16_e32 v62, -0.5, v27
	v_fmac_f16_e32 v81, 0xbb9c, v59
	v_sub_f16_e32 v8, v9, v8
	v_sub_f16_e32 v9, v10, v11
	v_add_f16_e32 v10, v55, v32
	v_fmac_f16_e32 v30, 0x38b4, v29
	v_add_f16_e32 v27, v45, v53
	v_fmamk_f16 v53, v29, 0xbb9c, v62
	v_fmac_f16_e32 v81, 0xb8b4, v29
	v_fmac_f16_e32 v62, 0x3b9c, v29
	v_fma_f16 v45, -0.5, v10, v28
	v_sub_f16_e32 v10, v4, v7
	v_add_f16_e32 v15, v15, v11
	v_fmac_f16_e32 v30, 0x34f2, v27
	v_fmac_f16_e32 v53, 0x38b4, v59
	v_add_f16_e32 v8, v8, v9
	v_add_f16_e32 v9, v28, v33
	v_fmac_f16_e32 v81, 0x34f2, v27
	v_fmac_f16_e32 v62, 0xb8b4, v59
	v_fmamk_f16 v11, v10, 0xbb9c, v45
	v_sub_f16_e32 v27, v5, v6
	v_sub_f16_e32 v29, v33, v55
	;; [unrolled: 1-line block ×3, first 2 shown]
	v_fmac_f16_e32 v45, 0x3b9c, v10
	v_fmac_f16_e32 v13, 0x34f2, v72
	;; [unrolled: 1-line block ×3, first 2 shown]
	v_add_f16_e32 v9, v9, v55
	v_add_f16_e32 v72, v33, v56
	v_fmac_f16_e32 v11, 0xb8b4, v27
	v_add_f16_e32 v29, v29, v59
	v_fmac_f16_e32 v45, 0x38b4, v27
	v_lshrrev_b32_e32 v73, 16, v28
	v_add_f16_e32 v9, v9, v32
	v_fmac_f16_e32 v28, -0.5, v72
	v_fmac_f16_e32 v11, 0x34f2, v29
	v_fmac_f16_e32 v45, 0x34f2, v29
	v_add_f16_e32 v29, v5, v6
	v_sub_f16_e32 v59, v55, v33
	v_sub_f16_e32 v72, v32, v56
	v_fmac_f16_e32 v53, 0x34f2, v8
	v_fmac_f16_e32 v62, 0x34f2, v8
	v_add_f16_e32 v8, v9, v56
	v_fmamk_f16 v9, v27, 0x3b9c, v28
	v_fmac_f16_e32 v28, 0xbb9c, v27
	v_fma_f16 v27, -0.5, v29, v73
	v_sub_f16_e32 v29, v33, v56
	v_add_f16_e32 v33, v59, v72
	v_add_f16_e32 v59, v4, v7
	;; [unrolled: 1-line block ×3, first 2 shown]
	v_fmac_f16_e32 v9, 0xb8b4, v10
	v_fmac_f16_e32 v28, 0x38b4, v10
	v_sub_f16_e32 v32, v55, v32
	v_fmac_f16_e32 v73, -0.5, v59
	v_add_f16_e32 v10, v82, v5
	v_fmamk_f16 v56, v29, 0x3b9c, v27
	v_fmac_f16_e32 v9, 0x34f2, v33
	v_fmac_f16_e32 v28, 0x34f2, v33
	v_sub_f16_e32 v33, v4, v5
	v_sub_f16_e32 v55, v7, v6
	v_fmac_f16_e32 v27, 0xbb9c, v29
	v_fmamk_f16 v59, v32, 0xbb9c, v73
	v_sub_f16_e32 v4, v5, v4
	v_sub_f16_e32 v5, v6, v7
	v_fmac_f16_e32 v73, 0x3b9c, v32
	v_add_f16_e32 v10, v10, v6
	v_fmac_f16_e32 v56, 0x38b4, v32
	v_add_f16_e32 v6, v33, v55
	v_fmac_f16_e32 v27, 0xb8b4, v32
	v_fmac_f16_e32 v59, 0x38b4, v29
	v_add_f16_e32 v4, v4, v5
	v_fmac_f16_e32 v73, 0xb8b4, v29
	v_fmac_f16_e32 v56, 0x34f2, v6
	;; [unrolled: 1-line block ×3, first 2 shown]
	v_pack_b32_f16 v6, v57, v60
	v_fmac_f16_e32 v59, 0x34f2, v4
	v_fmac_f16_e32 v73, 0x34f2, v4
	v_pack_b32_f16 v4, v54, v58
	v_add_f16_e32 v5, v10, v7
	v_pack_b32_f16 v7, v69, v61
	v_pack_b32_f16 v10, v25, v34
	;; [unrolled: 1-line block ×5, first 2 shown]
	ds_write2_b32 v68, v4, v6 offset1:51
	ds_write2_b32 v68, v7, v10 offset0:102 offset1:153
	ds_write_b32 v68, v25 offset:816
	ds_write2_b32 v67, v12, v15 offset1:51
	v_pack_b32_f16 v4, v13, v53
	v_pack_b32_f16 v6, v26, v62
	;; [unrolled: 1-line block ×8, first 2 shown]
	ds_write2_b32 v67, v4, v6 offset0:102 offset1:153
	ds_write_b32 v67, v7 offset:816
	ds_write2_b32 v66, v5, v8 offset1:51
	ds_write2_b32 v66, v9, v10 offset0:102 offset1:153
	ds_write_b32 v66, v11 offset:816
	s_waitcnt lgkmcnt(0)
	s_barrier
	buffer_gl0_inv
	ds_read2_b32 v[4:5], v65 offset1:119
	ds_read2_b32 v[25:26], v50 offset0:127 offset1:246
	ds_read2_b32 v[10:11], v47 offset0:126 offset1:245
	;; [unrolled: 1-line block ×6, first 2 shown]
	s_and_saveexec_b32 s1, s0
	s_cbranch_execz .LBB0_19
; %bb.18:
	v_add_nc_u32_e32 v27, 0x3b8, v65
	v_add_nc_u32_e32 v28, 0xbb0, v65
	;; [unrolled: 1-line block ×3, first 2 shown]
	ds_read2_b32 v[45:46], v27 offset1:255
	ds_read2_b32 v[41:42], v28 offset1:255
	;; [unrolled: 1-line block ×3, first 2 shown]
	ds_read_b32 v77, v65 offset:7072
	s_waitcnt lgkmcnt(3)
	v_lshrrev_b32_e32 v27, 16, v45
	v_lshrrev_b32_e32 v80, 16, v46
	s_waitcnt lgkmcnt(2)
	v_lshrrev_b32_e32 v79, 16, v41
	v_lshrrev_b32_e32 v74, 16, v42
	;; [unrolled: 3-line block ×3, first 2 shown]
	s_waitcnt lgkmcnt(0)
	v_lshrrev_b32_e32 v78, 16, v77
.LBB0_19:
	s_or_b32 exec_lo, exec_lo, s1
	s_waitcnt lgkmcnt(5)
	v_lshrrev_b32_e32 v28, 16, v25
	s_waitcnt lgkmcnt(4)
	v_lshrrev_b32_e32 v29, 16, v10
	;; [unrolled: 2-line block ×4, first 2 shown]
	v_mul_f16_sdwa v58, v20, v25 dst_sel:DWORD dst_unused:UNUSED_PAD src0_sel:WORD_1 src1_sel:DWORD
	v_mul_f16_sdwa v57, v20, v28 dst_sel:DWORD dst_unused:UNUSED_PAD src0_sel:WORD_1 src1_sel:DWORD
	;; [unrolled: 1-line block ×4, first 2 shown]
	s_waitcnt lgkmcnt(1)
	v_lshrrev_b32_e32 v32, 16, v6
	s_waitcnt lgkmcnt(0)
	v_lshrrev_b32_e32 v33, 16, v8
	v_lshrrev_b32_e32 v34, 16, v26
	v_fmac_f16_e32 v57, v20, v25
	v_fma_f16 v20, v20, v28, -v58
	v_fmac_f16_e32 v59, v21, v10
	v_fma_f16 v10, v21, v29, -v60
	v_mul_f16_sdwa v21, v22, v30 dst_sel:DWORD dst_unused:UNUSED_PAD src0_sel:WORD_1 src1_sel:DWORD
	v_mul_f16_sdwa v25, v22, v14 dst_sel:DWORD dst_unused:UNUSED_PAD src0_sel:WORD_1 src1_sel:DWORD
	;; [unrolled: 1-line block ×4, first 2 shown]
	v_lshrrev_b32_e32 v53, 16, v11
	v_lshrrev_b32_e32 v54, 16, v15
	;; [unrolled: 1-line block ×3, first 2 shown]
	v_mul_f16_sdwa v58, v37, v32 dst_sel:DWORD dst_unused:UNUSED_PAD src0_sel:WORD_1 src1_sel:DWORD
	v_fmac_f16_e32 v21, v22, v14
	v_fma_f16 v14, v22, v30, -v25
	v_fmac_f16_e32 v28, v23, v12
	v_fma_f16 v12, v23, v31, -v29
	v_mul_f16_sdwa v22, v38, v33 dst_sel:DWORD dst_unused:UNUSED_PAD src0_sel:WORD_1 src1_sel:DWORD
	v_mul_f16_sdwa v23, v38, v8 dst_sel:DWORD dst_unused:UNUSED_PAD src0_sel:WORD_1 src1_sel:DWORD
	;; [unrolled: 1-line block ×4, first 2 shown]
	v_lshrrev_b32_e32 v56, 16, v7
	v_lshrrev_b32_e32 v61, 16, v9
	v_fmac_f16_e32 v58, v37, v6
	v_mul_f16_sdwa v6, v37, v6 dst_sel:DWORD dst_unused:UNUSED_PAD src0_sel:WORD_1 src1_sel:DWORD
	v_fmac_f16_e32 v22, v38, v8
	v_fma_f16 v8, v38, v33, -v23
	v_fmac_f16_e32 v25, v16, v26
	v_fma_f16 v16, v16, v34, -v29
	v_mul_f16_sdwa v23, v17, v53 dst_sel:DWORD dst_unused:UNUSED_PAD src0_sel:WORD_1 src1_sel:DWORD
	v_mul_f16_sdwa v26, v17, v11 dst_sel:DWORD dst_unused:UNUSED_PAD src0_sel:WORD_1 src1_sel:DWORD
	;; [unrolled: 1-line block ×5, first 2 shown]
	v_fma_f16 v6, v37, v32, -v6
	v_fmac_f16_e32 v23, v17, v11
	v_fma_f16 v11, v17, v53, -v26
	v_fmac_f16_e32 v29, v18, v15
	v_fma_f16 v15, v18, v54, -v30
	v_fmac_f16_e32 v31, v19, v13
	v_mul_f16_sdwa v13, v19, v13 dst_sel:DWORD dst_unused:UNUSED_PAD src0_sel:WORD_1 src1_sel:DWORD
	v_mul_f16_sdwa v17, v39, v56 dst_sel:DWORD dst_unused:UNUSED_PAD src0_sel:WORD_1 src1_sel:DWORD
	;; [unrolled: 1-line block ×5, first 2 shown]
	v_fma_f16 v13, v19, v55, -v13
	v_fmac_f16_e32 v17, v39, v7
	v_fma_f16 v7, v39, v56, -v18
	v_fmac_f16_e32 v26, v40, v9
	v_fma_f16 v9, v40, v61, -v30
	v_add_f16_e32 v18, v57, v22
	v_add_f16_e32 v19, v20, v8
	v_sub_f16_e32 v8, v20, v8
	v_add_f16_e32 v20, v59, v58
	v_add_f16_e32 v30, v10, v6
	v_sub_f16_e32 v22, v57, v22
	v_sub_f16_e32 v32, v59, v58
	;; [unrolled: 1-line block ×3, first 2 shown]
	v_add_f16_e32 v10, v21, v28
	v_add_f16_e32 v33, v14, v12
	v_sub_f16_e32 v21, v28, v21
	v_sub_f16_e32 v12, v12, v14
	v_add_f16_e32 v14, v20, v18
	v_add_f16_e32 v28, v30, v19
	v_sub_f16_e32 v34, v20, v18
	v_sub_f16_e32 v37, v30, v19
	;; [unrolled: 1-line block ×6, first 2 shown]
	v_add_f16_e32 v38, v21, v32
	v_add_f16_e32 v39, v12, v6
	v_sub_f16_e32 v40, v21, v32
	v_sub_f16_e32 v53, v12, v6
	v_sub_f16_e32 v32, v32, v22
	v_add_f16_e32 v10, v10, v14
	v_add_f16_e32 v14, v33, v28
	v_sub_f16_e32 v6, v6, v8
	v_sub_f16_e32 v21, v22, v21
	;; [unrolled: 1-line block ×3, first 2 shown]
	v_add_f16_e32 v22, v38, v22
	v_add_f16_e32 v8, v39, v8
	;; [unrolled: 1-line block ×3, first 2 shown]
	v_add_f16_sdwa v4, v4, v14 dst_sel:DWORD dst_unused:UNUSED_PAD src0_sel:WORD_1 src1_sel:DWORD
	v_mul_f16_e32 v18, 0x3a52, v18
	v_mul_f16_e32 v19, 0x3a52, v19
	;; [unrolled: 1-line block ×8, first 2 shown]
	v_fmamk_f16 v10, v10, 0xbcab, v28
	v_fmamk_f16 v14, v14, 0xbcab, v4
	;; [unrolled: 1-line block ×4, first 2 shown]
	v_fma_f16 v33, v34, 0x39e0, -v33
	v_fma_f16 v38, v37, 0x39e0, -v38
	;; [unrolled: 1-line block ×4, first 2 shown]
	v_fmamk_f16 v34, v21, 0xb574, v39
	v_fmamk_f16 v37, v12, 0xb574, v40
	v_fma_f16 v21, v21, 0x3574, -v53
	v_fma_f16 v12, v12, 0x3574, -v54
	;; [unrolled: 1-line block ×4, first 2 shown]
	v_add_f16_e32 v20, v20, v10
	v_add_f16_e32 v30, v30, v14
	;; [unrolled: 1-line block ×6, first 2 shown]
	v_fmac_f16_e32 v34, 0xb70e, v22
	v_fmac_f16_e32 v37, 0xb70e, v8
	;; [unrolled: 1-line block ×6, first 2 shown]
	v_add_f16_e32 v8, v37, v20
	v_sub_f16_e32 v18, v30, v34
	v_add_f16_e32 v19, v12, v10
	v_sub_f16_e32 v22, v14, v21
	v_sub_f16_e32 v10, v10, v12
	v_add_f16_e32 v12, v21, v14
	v_sub_f16_e32 v14, v20, v37
	v_add_f16_e32 v20, v34, v30
	v_add_f16_e32 v21, v25, v26
	v_add_f16_e32 v30, v16, v9
	v_sub_f16_e32 v25, v25, v26
	v_sub_f16_e32 v9, v16, v9
	v_add_f16_e32 v16, v23, v17
	v_add_f16_e32 v26, v11, v7
	v_sub_f16_e32 v17, v23, v17
	v_sub_f16_e32 v7, v11, v7
	v_add_f16_e32 v11, v29, v31
	v_add_f16_e32 v23, v15, v13
	;; [unrolled: 4-line block ×3, first 2 shown]
	v_sub_f16_e32 v39, v33, v6
	v_add_f16_e32 v40, v32, v38
	v_add_f16_e32 v6, v6, v33
	v_sub_f16_e32 v32, v38, v32
	v_sub_f16_e32 v33, v16, v21
	;; [unrolled: 1-line block ×7, first 2 shown]
	v_add_f16_e32 v37, v29, v17
	v_add_f16_e32 v38, v13, v7
	v_sub_f16_e32 v53, v29, v17
	v_sub_f16_e32 v54, v13, v7
	v_add_f16_e32 v11, v11, v15
	v_add_f16_e32 v15, v23, v31
	v_sub_f16_e32 v17, v17, v25
	v_sub_f16_e32 v7, v7, v9
	;; [unrolled: 1-line block ×4, first 2 shown]
	v_add_f16_e32 v23, v37, v25
	v_add_f16_e32 v9, v38, v9
	;; [unrolled: 1-line block ×3, first 2 shown]
	v_add_f16_sdwa v5, v5, v15 dst_sel:DWORD dst_unused:UNUSED_PAD src0_sel:WORD_1 src1_sel:DWORD
	v_mul_f16_e32 v21, 0x3a52, v21
	v_mul_f16_e32 v30, 0x3a52, v30
	;; [unrolled: 1-line block ×8, first 2 shown]
	v_fmamk_f16 v11, v11, 0xbcab, v25
	v_fmamk_f16 v15, v15, 0xbcab, v5
	;; [unrolled: 1-line block ×4, first 2 shown]
	v_fma_f16 v31, v33, 0x39e0, -v31
	v_fma_f16 v37, v34, 0x39e0, -v37
	;; [unrolled: 1-line block ×4, first 2 shown]
	v_fmamk_f16 v33, v29, 0xb574, v38
	v_fmamk_f16 v34, v13, 0xb574, v53
	v_fma_f16 v29, v29, 0x3574, -v54
	v_fma_f16 v13, v13, 0x3574, -v55
	;; [unrolled: 1-line block ×4, first 2 shown]
	v_add_f16_e32 v16, v16, v11
	v_add_f16_e32 v26, v26, v15
	v_fmac_f16_e32 v33, 0xb70e, v23
	v_fmac_f16_e32 v34, 0xb70e, v9
	v_add_f16_e32 v31, v31, v11
	v_add_f16_e32 v37, v37, v15
	;; [unrolled: 1-line block ×4, first 2 shown]
	v_fmac_f16_e32 v13, 0xb70e, v9
	v_fmac_f16_e32 v29, 0xb70e, v23
	;; [unrolled: 1-line block ×4, first 2 shown]
	v_add_f16_e32 v9, v34, v16
	v_sub_f16_e32 v21, v26, v33
	v_add_f16_e32 v23, v13, v11
	v_sub_f16_e32 v30, v15, v29
	v_pack_b32_f16 v4, v28, v4
	v_pack_b32_f16 v5, v25, v5
	v_sub_f16_e32 v38, v31, v7
	v_add_f16_e32 v53, v17, v37
	v_pack_b32_f16 v8, v8, v18
	v_pack_b32_f16 v9, v9, v21
	v_add_f16_e32 v7, v7, v31
	v_sub_f16_e32 v17, v37, v17
	v_sub_f16_e32 v11, v11, v13
	v_add_f16_e32 v13, v29, v15
	v_sub_f16_e32 v15, v16, v34
	v_add_f16_e32 v16, v33, v26
	v_pack_b32_f16 v18, v19, v22
	ds_write2_b32 v65, v4, v5 offset1:119
	ds_write2_b32 v50, v8, v9 offset0:127 offset1:246
	v_pack_b32_f16 v4, v23, v30
	v_pack_b32_f16 v19, v39, v40
	;; [unrolled: 1-line block ×9, first 2 shown]
	ds_write2_b32 v47, v18, v4 offset0:126 offset1:245
	ds_write2_b32 v49, v19, v5 offset0:125 offset1:244
	;; [unrolled: 1-line block ×5, first 2 shown]
	s_and_saveexec_b32 s1, s0
	s_cbranch_execz .LBB0_21
; %bb.20:
	v_mul_f16_sdwa v4, v0, v80 dst_sel:DWORD dst_unused:UNUSED_PAD src0_sel:WORD_1 src1_sel:DWORD
	v_mul_f16_sdwa v7, v1, v79 dst_sel:DWORD dst_unused:UNUSED_PAD src0_sel:WORD_1 src1_sel:DWORD
	;; [unrolled: 1-line block ×10, first 2 shown]
	v_fmac_f16_e32 v7, v1, v41
	v_fmac_f16_e32 v4, v0, v46
	v_fma_f16 v12, v36, v78, -v12
	v_fma_f16 v0, v0, v80, -v15
	v_mul_f16_sdwa v15, v2, v42 dst_sel:DWORD dst_unused:UNUSED_PAD src0_sel:WORD_1 src1_sel:DWORD
	v_mul_f16_sdwa v19, v3, v43 dst_sel:DWORD dst_unused:UNUSED_PAD src0_sel:WORD_1 src1_sel:DWORD
	v_fma_f16 v17, v35, v76, -v17
	v_fma_f16 v1, v1, v79, -v18
	v_fmac_f16_e32 v5, v3, v43
	v_fmac_f16_e32 v6, v2, v42
	;; [unrolled: 1-line block ×4, first 2 shown]
	v_add_f16_e32 v18, v12, v0
	v_fma_f16 v2, v2, v74, -v15
	v_fma_f16 v3, v3, v75, -v19
	v_add_f16_e32 v15, v17, v1
	v_sub_f16_e32 v11, v7, v8
	v_sub_f16_e32 v13, v4, v9
	v_add_f16_e32 v4, v9, v4
	v_add_f16_e32 v20, v2, v3
	;; [unrolled: 1-line block ×4, first 2 shown]
	v_sub_f16_e32 v10, v5, v6
	v_add_f16_e32 v5, v6, v5
	v_sub_f16_e32 v22, v18, v20
	v_add_f16_e32 v21, v20, v21
	;; [unrolled: 2-line block ×3, first 2 shown]
	v_sub_f16_e32 v23, v4, v5
	v_sub_f16_e32 v2, v3, v2
	;; [unrolled: 1-line block ×4, first 2 shown]
	v_add_f16_e32 v20, v5, v20
	v_sub_f16_e32 v14, v10, v11
	v_mul_f16_e32 v3, 0x3a52, v23
	v_sub_f16_e32 v5, v5, v7
	v_sub_f16_e32 v12, v2, v1
	v_add_f16_e32 v17, v45, v20
	v_sub_f16_e32 v16, v13, v10
	v_add_f16_e32 v10, v10, v11
	v_mul_f16_e32 v9, 0x3a52, v22
	v_sub_f16_e32 v25, v0, v2
	v_sub_f16_e32 v11, v11, v13
	v_add_f16_e32 v2, v2, v1
	v_sub_f16_e32 v15, v15, v18
	v_sub_f16_e32 v1, v1, v0
	v_mul_f16_e32 v14, 0x3846, v14
	v_add_f16_e32 v6, v27, v21
	v_mul_f16_e32 v22, 0x2b26, v8
	v_fmamk_f16 v23, v5, 0x2b26, v3
	v_fmamk_f16 v20, v20, 0xbcab, v17
	v_mul_f16_e32 v12, 0x3846, v12
	v_fmamk_f16 v8, v8, 0x2b26, v9
	v_mul_f16_e32 v5, 0x2b26, v5
	v_mul_f16_e32 v27, 0xbb00, v11
	v_sub_f16_e32 v4, v7, v4
	v_fma_f16 v7, v15, 0xb9e0, -v9
	v_mul_f16_e32 v9, 0xbb00, v1
	v_fmamk_f16 v19, v16, 0xb574, v14
	v_add_f16_e32 v10, v10, v13
	v_fmamk_f16 v21, v21, 0xbcab, v6
	v_add_f16_e32 v13, v23, v20
	v_fmamk_f16 v23, v25, 0xb574, v12
	v_add_f16_e32 v0, v2, v0
	v_fma_f16 v15, v15, 0x39e0, -v22
	v_fma_f16 v11, v11, 0xbb00, -v14
	;; [unrolled: 1-line block ×7, first 2 shown]
	v_fmac_f16_e32 v19, 0xb70e, v10
	v_add_f16_e32 v8, v8, v21
	v_fmac_f16_e32 v23, 0xb70e, v0
	v_add_f16_e32 v5, v15, v21
	v_fmac_f16_e32 v11, 0xb70e, v10
	v_fmac_f16_e32 v2, 0xb70e, v10
	v_add_f16_e32 v7, v7, v21
	v_add_f16_e32 v3, v3, v20
	v_fmac_f16_e32 v9, 0xb70e, v0
	v_fmac_f16_e32 v1, 0xb70e, v0
	v_add_f16_e32 v0, v4, v20
	v_add_f16_e32 v26, v19, v8
	v_sub_f16_e32 v14, v5, v11
	v_add_f16_e32 v5, v11, v5
	v_sub_f16_e32 v8, v8, v19
	v_add_f16_e32 v11, v23, v13
	v_add_f16_e32 v10, v2, v7
	v_sub_f16_e32 v12, v3, v9
	v_add_f16_e32 v15, v1, v0
	v_sub_f16_e32 v2, v7, v2
	;; [unrolled: 2-line block ×3, first 2 shown]
	v_sub_f16_e32 v4, v13, v23
	v_pack_b32_f16 v1, v17, v6
	v_pack_b32_f16 v6, v11, v8
	v_add_nc_u32_e32 v7, 0x3b8, v65
	v_pack_b32_f16 v2, v3, v2
	v_pack_b32_f16 v0, v0, v5
	v_add_nc_u32_e32 v3, 0xbb0, v65
	;; [unrolled: 3-line block ×3, first 2 shown]
	v_pack_b32_f16 v4, v4, v26
	ds_write2_b32 v7, v1, v6 offset1:255
	ds_write2_b32 v3, v2, v0 offset1:255
	ds_write2_b32 v9, v5, v8 offset1:255
	ds_write_b32 v65, v4 offset:7072
.LBB0_21:
	s_or_b32 exec_lo, exec_lo, s1
	s_waitcnt lgkmcnt(0)
	s_barrier
	buffer_gl0_inv
	s_and_b32 exec_lo, exec_lo, vcc_lo
	s_cbranch_execz .LBB0_23
; %bb.22:
	global_load_dword v0, v63, s[12:13]
	ds_read_b32 v1, v65
	s_mov_b32 s8, 0x125b8012
	s_mov_b32 s9, 0x3f425b80
	v_mad_u64_u32 v[6:7], null, s4, v64, 0
	s_mul_hi_u32 s3, s4, 0x1a4
	s_mulk_i32 s4, 0x1a4
	s_waitcnt lgkmcnt(0)
	v_lshrrev_b32_e32 v2, 16, v1
	s_waitcnt vmcnt(0)
	v_mul_f16_sdwa v3, v2, v0 dst_sel:DWORD dst_unused:UNUSED_PAD src0_sel:DWORD src1_sel:WORD_1
	v_mul_f16_sdwa v4, v1, v0 dst_sel:DWORD dst_unused:UNUSED_PAD src0_sel:DWORD src1_sel:WORD_1
	v_fmac_f16_e32 v3, v1, v0
	v_fma_f16 v0, v0, v2, -v4
	v_mad_u64_u32 v[4:5], null, s6, v24, 0
	v_cvt_f32_f16_e32 v1, v3
	v_cvt_f32_f16_e32 v2, v0
	v_cvt_f64_f32_e32 v[0:1], v1
	v_cvt_f64_f32_e32 v[2:3], v2
	v_mul_f64 v[0:1], v[0:1], s[8:9]
	v_mul_f64 v[2:3], v[2:3], s[8:9]
	v_and_or_b32 v0, 0x1ff, v1, v0
	v_and_or_b32 v2, 0x1ff, v3, v2
	v_lshrrev_b32_e32 v8, 8, v1
	v_bfe_u32 v10, v1, 20, 11
	v_lshrrev_b32_e32 v9, 8, v3
	v_cmp_ne_u32_e32 vcc_lo, 0, v0
	v_bfe_u32 v11, v3, 20, 11
	v_mov_b32_e32 v0, v7
	v_sub_nc_u32_e32 v13, 0x3f1, v10
	v_add_nc_u32_e32 v10, 0xfffffc10, v10
	v_cndmask_b32_e64 v12, 0, 1, vcc_lo
	v_cmp_ne_u32_e32 vcc_lo, 0, v2
	v_sub_nc_u32_e32 v14, 0x3f1, v11
	v_med3_i32 v13, v13, 0, 13
	v_add_nc_u32_e32 v11, 0xfffffc10, v11
	v_and_or_b32 v12, 0xffe, v8, v12
	v_cndmask_b32_e64 v2, 0, 1, vcc_lo
	v_mad_u64_u32 v[7:8], null, s7, v24, v[5:6]
	v_med3_i32 v14, v14, 0, 13
	v_or_b32_e32 v15, 0x1000, v12
	v_and_or_b32 v2, 0xffe, v9, v2
	v_mad_u64_u32 v[8:9], null, s5, v64, v[0:1]
	v_lshrrev_b32_e32 v3, 16, v3
	v_lshrrev_b32_e32 v0, v13, v15
	v_or_b32_e32 v16, 0x1000, v2
	v_mov_b32_e32 v5, v7
	v_mov_b32_e32 v7, v8
	v_lshrrev_b32_e32 v9, v14, v16
	v_lshlrev_b32_e32 v13, v13, v0
	v_lshlrev_b64 v[4:5], 2, v[4:5]
	v_lshlrev_b32_e32 v8, v14, v9
	v_cmp_ne_u32_e32 vcc_lo, v13, v15
	v_lshl_or_b32 v14, v10, 12, v12
	v_cndmask_b32_e64 v13, 0, 1, vcc_lo
	v_cmp_ne_u32_e32 vcc_lo, v8, v16
	v_or_b32_e32 v0, v0, v13
	v_cndmask_b32_e64 v8, 0, 1, vcc_lo
	v_cmp_gt_i32_e32 vcc_lo, 1, v10
	v_lshl_or_b32 v13, v11, 12, v2
	v_or_b32_e32 v8, v9, v8
	v_cndmask_b32_e32 v0, v14, v0, vcc_lo
	v_cmp_gt_i32_e32 vcc_lo, 1, v11
	v_lshrrev_b32_e32 v9, 16, v1
	v_cndmask_b32_e32 v1, v13, v8, vcc_lo
	v_cmp_ne_u32_e32 vcc_lo, 0, v12
	v_and_b32_e32 v12, 7, v0
	v_lshrrev_b32_e32 v0, 2, v0
	v_and_b32_e32 v13, 7, v1
	v_cndmask_b32_e64 v8, 0, 1, vcc_lo
	v_cmp_ne_u32_e32 vcc_lo, 0, v2
	v_cmp_eq_u32_e64 s0, 3, v12
	v_lshrrev_b32_e32 v1, 2, v1
	v_cmp_lt_i32_e64 s1, 5, v13
	v_cmp_eq_u32_e64 s2, 3, v13
	v_cndmask_b32_e64 v2, 0, 1, vcc_lo
	v_cmp_lt_i32_e32 vcc_lo, 5, v12
	v_lshl_or_b32 v8, v8, 9, 0x7c00
	v_lshl_or_b32 v2, v2, 9, 0x7c00
	s_or_b32 vcc_lo, s0, vcc_lo
	v_add_co_ci_u32_e32 v0, vcc_lo, 0, v0, vcc_lo
	s_or_b32 vcc_lo, s2, s1
	v_add_co_ci_u32_e32 v1, vcc_lo, 0, v1, vcc_lo
	v_cmp_gt_i32_e32 vcc_lo, 31, v10
	v_cndmask_b32_e32 v0, 0x7c00, v0, vcc_lo
	v_cmp_gt_i32_e32 vcc_lo, 31, v11
	v_cndmask_b32_e32 v12, 0x7c00, v1, vcc_lo
	v_cmp_eq_u32_e32 vcc_lo, 0x40f, v10
	v_cndmask_b32_e32 v8, v0, v8, vcc_lo
	v_cmp_eq_u32_e32 vcc_lo, 0x40f, v11
	v_lshlrev_b64 v[0:1], 2, v[6:7]
	v_and_or_b32 v6, 0x8000, v9, v8
	v_cndmask_b32_e32 v2, v12, v2, vcc_lo
	v_add_co_u32 v4, vcc_lo, s14, v4
	v_add_co_ci_u32_e32 v5, vcc_lo, s15, v5, vcc_lo
	v_and_or_b32 v2, 0x8000, v3, v2
	v_and_b32_e32 v3, 0xffff, v6
	v_add_co_u32 v0, vcc_lo, v4, v0
	v_add_co_ci_u32_e32 v1, vcc_lo, v5, v1, vcc_lo
	v_lshl_or_b32 v2, v2, 16, v3
	global_store_dword v[0:1], v2, off
	global_load_dword v4, v63, s[12:13] offset:420
	ds_read2_b32 v[2:3], v63 offset0:105 offset1:210
	s_waitcnt lgkmcnt(0)
	v_lshrrev_b32_e32 v5, 16, v2
	s_waitcnt vmcnt(0)
	v_mul_f16_sdwa v6, v5, v4 dst_sel:DWORD dst_unused:UNUSED_PAD src0_sel:DWORD src1_sel:WORD_1
	v_mul_f16_sdwa v7, v2, v4 dst_sel:DWORD dst_unused:UNUSED_PAD src0_sel:DWORD src1_sel:WORD_1
	v_fmac_f16_e32 v6, v2, v4
	v_fma_f16 v2, v4, v5, -v7
	v_cvt_f32_f16_e32 v4, v6
	v_cvt_f32_f16_e32 v2, v2
	v_cvt_f64_f32_e32 v[4:5], v4
	v_cvt_f64_f32_e32 v[6:7], v2
	v_mul_f64 v[4:5], v[4:5], s[8:9]
	v_mul_f64 v[6:7], v[6:7], s[8:9]
	v_and_or_b32 v2, 0x1ff, v5, v4
	v_and_or_b32 v6, 0x1ff, v7, v6
	v_lshrrev_b32_e32 v4, 8, v5
	v_bfe_u32 v8, v5, 20, 11
	v_lshrrev_b32_e32 v9, 8, v7
	v_cmp_ne_u32_e32 vcc_lo, 0, v2
	v_bfe_u32 v10, v7, 20, 11
	v_lshrrev_b32_e32 v5, 16, v5
	v_sub_nc_u32_e32 v11, 0x3f1, v8
	v_add_nc_u32_e32 v8, 0xfffffc10, v8
	v_cndmask_b32_e64 v2, 0, 1, vcc_lo
	v_cmp_ne_u32_e32 vcc_lo, 0, v6
	v_lshrrev_b32_e32 v7, 16, v7
	v_and_or_b32 v2, 0xffe, v4, v2
	v_cndmask_b32_e64 v6, 0, 1, vcc_lo
	v_sub_nc_u32_e32 v4, 0x3f1, v10
	v_add_nc_u32_e32 v10, 0xfffffc10, v10
	v_and_or_b32 v6, 0xffe, v9, v6
	v_med3_i32 v9, v11, 0, 13
	v_or_b32_e32 v11, 0x1000, v2
	v_med3_i32 v4, v4, 0, 13
	v_or_b32_e32 v12, 0x1000, v6
	v_lshrrev_b32_e32 v13, v9, v11
	v_lshrrev_b32_e32 v14, v4, v12
	v_lshlrev_b32_e32 v9, v9, v13
	v_lshlrev_b32_e32 v4, v4, v14
	v_cmp_ne_u32_e32 vcc_lo, v9, v11
	v_lshl_or_b32 v11, v8, 12, v2
	v_cndmask_b32_e64 v9, 0, 1, vcc_lo
	v_cmp_ne_u32_e32 vcc_lo, v4, v12
	v_lshl_or_b32 v12, v10, 12, v6
	v_or_b32_e32 v9, v13, v9
	v_cndmask_b32_e64 v4, 0, 1, vcc_lo
	v_cmp_gt_i32_e32 vcc_lo, 1, v8
	v_or_b32_e32 v4, v14, v4
	v_cndmask_b32_e32 v9, v11, v9, vcc_lo
	v_cmp_gt_i32_e32 vcc_lo, 1, v10
	v_and_b32_e32 v11, 7, v9
	v_cndmask_b32_e32 v4, v12, v4, vcc_lo
	v_cmp_ne_u32_e32 vcc_lo, 0, v2
	v_lshrrev_b32_e32 v9, 2, v9
	v_cmp_eq_u32_e64 s0, 3, v11
	v_and_b32_e32 v12, 7, v4
	v_cndmask_b32_e64 v2, 0, 1, vcc_lo
	v_cmp_ne_u32_e32 vcc_lo, 0, v6
	v_lshrrev_b32_e32 v4, 2, v4
	v_cmp_lt_i32_e64 s1, 5, v12
	v_cmp_eq_u32_e64 s2, 3, v12
	v_cndmask_b32_e64 v6, 0, 1, vcc_lo
	v_cmp_lt_i32_e32 vcc_lo, 5, v11
	v_lshl_or_b32 v2, v2, 9, 0x7c00
	v_lshl_or_b32 v6, v6, 9, 0x7c00
	s_or_b32 vcc_lo, s0, vcc_lo
	s_mul_i32 s0, s5, 0x1a4
	v_add_co_ci_u32_e32 v9, vcc_lo, 0, v9, vcc_lo
	s_or_b32 vcc_lo, s2, s1
	s_add_i32 s3, s3, s0
	v_add_co_ci_u32_e32 v4, vcc_lo, 0, v4, vcc_lo
	v_cmp_gt_i32_e32 vcc_lo, 31, v8
	v_cndmask_b32_e32 v9, 0x7c00, v9, vcc_lo
	v_cmp_gt_i32_e32 vcc_lo, 31, v10
	v_cndmask_b32_e32 v4, 0x7c00, v4, vcc_lo
	v_cmp_eq_u32_e32 vcc_lo, 0x40f, v8
	v_cndmask_b32_e32 v2, v9, v2, vcc_lo
	v_cmp_eq_u32_e32 vcc_lo, 0x40f, v10
	v_and_or_b32 v2, 0x8000, v5, v2
	v_cndmask_b32_e32 v4, v4, v6, vcc_lo
	v_add_co_u32 v0, vcc_lo, v0, s4
	v_add_co_ci_u32_e32 v1, vcc_lo, s3, v1, vcc_lo
	v_and_or_b32 v4, 0x8000, v7, v4
	v_and_b32_e32 v2, 0xffff, v2
	v_lshl_or_b32 v2, v4, 16, v2
	v_lshrrev_b32_e32 v4, 16, v3
	global_store_dword v[0:1], v2, off
	global_load_dword v2, v63, s[12:13] offset:840
	s_waitcnt vmcnt(0)
	v_mul_f16_sdwa v5, v4, v2 dst_sel:DWORD dst_unused:UNUSED_PAD src0_sel:DWORD src1_sel:WORD_1
	v_mul_f16_sdwa v6, v3, v2 dst_sel:DWORD dst_unused:UNUSED_PAD src0_sel:DWORD src1_sel:WORD_1
	v_fmac_f16_e32 v5, v3, v2
	v_fma_f16 v2, v2, v4, -v6
	v_cvt_f32_f16_e32 v3, v5
	v_cvt_f32_f16_e32 v4, v2
	v_cvt_f64_f32_e32 v[2:3], v3
	v_cvt_f64_f32_e32 v[4:5], v4
	v_mul_f64 v[2:3], v[2:3], s[8:9]
	v_mul_f64 v[4:5], v[4:5], s[8:9]
	v_and_or_b32 v2, 0x1ff, v3, v2
	v_and_or_b32 v4, 0x1ff, v5, v4
	v_lshrrev_b32_e32 v6, 8, v3
	v_bfe_u32 v7, v3, 20, 11
	v_lshrrev_b32_e32 v8, 8, v5
	v_cmp_ne_u32_e32 vcc_lo, 0, v2
	v_bfe_u32 v9, v5, 20, 11
	v_lshrrev_b32_e32 v3, 16, v3
	v_sub_nc_u32_e32 v10, 0x3f1, v7
	v_add_nc_u32_e32 v7, 0xfffffc10, v7
	v_cndmask_b32_e64 v2, 0, 1, vcc_lo
	v_cmp_ne_u32_e32 vcc_lo, 0, v4
	v_lshrrev_b32_e32 v5, 16, v5
	v_and_or_b32 v2, 0xffe, v6, v2
	v_cndmask_b32_e64 v4, 0, 1, vcc_lo
	v_sub_nc_u32_e32 v6, 0x3f1, v9
	v_add_nc_u32_e32 v9, 0xfffffc10, v9
	v_and_or_b32 v4, 0xffe, v8, v4
	v_med3_i32 v8, v10, 0, 13
	v_or_b32_e32 v10, 0x1000, v2
	v_med3_i32 v6, v6, 0, 13
	v_or_b32_e32 v11, 0x1000, v4
	v_lshrrev_b32_e32 v12, v8, v10
	v_lshrrev_b32_e32 v13, v6, v11
	v_lshlrev_b32_e32 v8, v8, v12
	v_lshlrev_b32_e32 v6, v6, v13
	v_cmp_ne_u32_e32 vcc_lo, v8, v10
	v_lshl_or_b32 v10, v7, 12, v2
	v_cndmask_b32_e64 v8, 0, 1, vcc_lo
	v_cmp_ne_u32_e32 vcc_lo, v6, v11
	v_lshl_or_b32 v11, v9, 12, v4
	v_or_b32_e32 v8, v12, v8
	v_cndmask_b32_e64 v6, 0, 1, vcc_lo
	v_cmp_gt_i32_e32 vcc_lo, 1, v7
	v_or_b32_e32 v6, v13, v6
	v_cndmask_b32_e32 v8, v10, v8, vcc_lo
	v_cmp_gt_i32_e32 vcc_lo, 1, v9
	v_and_b32_e32 v10, 7, v8
	v_cndmask_b32_e32 v6, v11, v6, vcc_lo
	v_cmp_ne_u32_e32 vcc_lo, 0, v2
	v_lshrrev_b32_e32 v8, 2, v8
	v_cmp_eq_u32_e64 s0, 3, v10
	v_and_b32_e32 v11, 7, v6
	v_cndmask_b32_e64 v2, 0, 1, vcc_lo
	v_cmp_ne_u32_e32 vcc_lo, 0, v4
	v_lshrrev_b32_e32 v6, 2, v6
	v_cmp_lt_i32_e64 s1, 5, v11
	v_cmp_eq_u32_e64 s2, 3, v11
	v_cndmask_b32_e64 v4, 0, 1, vcc_lo
	v_cmp_lt_i32_e32 vcc_lo, 5, v10
	v_lshl_or_b32 v2, v2, 9, 0x7c00
	v_lshl_or_b32 v4, v4, 9, 0x7c00
	s_or_b32 vcc_lo, s0, vcc_lo
	v_add_co_ci_u32_e32 v8, vcc_lo, 0, v8, vcc_lo
	s_or_b32 vcc_lo, s2, s1
	v_add_co_ci_u32_e32 v6, vcc_lo, 0, v6, vcc_lo
	v_cmp_gt_i32_e32 vcc_lo, 31, v7
	v_cndmask_b32_e32 v8, 0x7c00, v8, vcc_lo
	v_cmp_gt_i32_e32 vcc_lo, 31, v9
	v_cndmask_b32_e32 v6, 0x7c00, v6, vcc_lo
	v_cmp_eq_u32_e32 vcc_lo, 0x40f, v7
	v_cndmask_b32_e32 v2, v8, v2, vcc_lo
	v_cmp_eq_u32_e32 vcc_lo, 0x40f, v9
	v_and_or_b32 v2, 0x8000, v3, v2
	v_cndmask_b32_e32 v4, v6, v4, vcc_lo
	v_add_co_u32 v0, vcc_lo, v0, s4
	v_add_co_ci_u32_e32 v1, vcc_lo, s3, v1, vcc_lo
	v_and_or_b32 v3, 0x8000, v5, v4
	v_and_b32_e32 v2, 0xffff, v2
	v_lshl_or_b32 v2, v3, 16, v2
	global_store_dword v[0:1], v2, off
	global_load_dword v4, v63, s[12:13] offset:1260
	v_add_nc_u32_e32 v2, 0x400, v63
	ds_read2_b32 v[2:3], v2 offset0:59 offset1:164
	s_waitcnt lgkmcnt(0)
	v_lshrrev_b32_e32 v5, 16, v2
	s_waitcnt vmcnt(0)
	v_mul_f16_sdwa v6, v5, v4 dst_sel:DWORD dst_unused:UNUSED_PAD src0_sel:DWORD src1_sel:WORD_1
	v_mul_f16_sdwa v7, v2, v4 dst_sel:DWORD dst_unused:UNUSED_PAD src0_sel:DWORD src1_sel:WORD_1
	v_fmac_f16_e32 v6, v2, v4
	v_fma_f16 v2, v4, v5, -v7
	v_cvt_f32_f16_e32 v4, v6
	v_cvt_f32_f16_e32 v2, v2
	v_cvt_f64_f32_e32 v[4:5], v4
	v_cvt_f64_f32_e32 v[6:7], v2
	v_mul_f64 v[4:5], v[4:5], s[8:9]
	v_mul_f64 v[6:7], v[6:7], s[8:9]
	v_and_or_b32 v2, 0x1ff, v5, v4
	v_and_or_b32 v6, 0x1ff, v7, v6
	v_lshrrev_b32_e32 v4, 8, v5
	v_bfe_u32 v8, v5, 20, 11
	v_lshrrev_b32_e32 v9, 8, v7
	v_cmp_ne_u32_e32 vcc_lo, 0, v2
	v_bfe_u32 v10, v7, 20, 11
	v_lshrrev_b32_e32 v5, 16, v5
	v_sub_nc_u32_e32 v11, 0x3f1, v8
	v_add_nc_u32_e32 v8, 0xfffffc10, v8
	v_cndmask_b32_e64 v2, 0, 1, vcc_lo
	v_cmp_ne_u32_e32 vcc_lo, 0, v6
	v_lshrrev_b32_e32 v7, 16, v7
	v_and_or_b32 v2, 0xffe, v4, v2
	v_cndmask_b32_e64 v6, 0, 1, vcc_lo
	v_sub_nc_u32_e32 v4, 0x3f1, v10
	v_add_nc_u32_e32 v10, 0xfffffc10, v10
	v_and_or_b32 v6, 0xffe, v9, v6
	v_med3_i32 v9, v11, 0, 13
	v_or_b32_e32 v11, 0x1000, v2
	v_med3_i32 v4, v4, 0, 13
	v_or_b32_e32 v12, 0x1000, v6
	v_lshrrev_b32_e32 v13, v9, v11
	v_lshrrev_b32_e32 v14, v4, v12
	v_lshlrev_b32_e32 v9, v9, v13
	v_lshlrev_b32_e32 v4, v4, v14
	v_cmp_ne_u32_e32 vcc_lo, v9, v11
	v_lshl_or_b32 v11, v8, 12, v2
	v_cndmask_b32_e64 v9, 0, 1, vcc_lo
	v_cmp_ne_u32_e32 vcc_lo, v4, v12
	v_lshl_or_b32 v12, v10, 12, v6
	v_or_b32_e32 v9, v13, v9
	v_cndmask_b32_e64 v4, 0, 1, vcc_lo
	v_cmp_gt_i32_e32 vcc_lo, 1, v8
	v_or_b32_e32 v4, v14, v4
	v_cndmask_b32_e32 v9, v11, v9, vcc_lo
	v_cmp_gt_i32_e32 vcc_lo, 1, v10
	v_and_b32_e32 v11, 7, v9
	v_cndmask_b32_e32 v4, v12, v4, vcc_lo
	v_cmp_ne_u32_e32 vcc_lo, 0, v2
	v_lshrrev_b32_e32 v9, 2, v9
	v_cmp_eq_u32_e64 s0, 3, v11
	v_and_b32_e32 v12, 7, v4
	v_cndmask_b32_e64 v2, 0, 1, vcc_lo
	v_cmp_ne_u32_e32 vcc_lo, 0, v6
	v_lshrrev_b32_e32 v4, 2, v4
	v_cmp_lt_i32_e64 s1, 5, v12
	v_cmp_eq_u32_e64 s2, 3, v12
	v_cndmask_b32_e64 v6, 0, 1, vcc_lo
	v_cmp_lt_i32_e32 vcc_lo, 5, v11
	v_lshl_or_b32 v2, v2, 9, 0x7c00
	v_lshl_or_b32 v6, v6, 9, 0x7c00
	s_or_b32 vcc_lo, s0, vcc_lo
	v_add_co_ci_u32_e32 v9, vcc_lo, 0, v9, vcc_lo
	s_or_b32 vcc_lo, s2, s1
	v_add_co_ci_u32_e32 v4, vcc_lo, 0, v4, vcc_lo
	v_cmp_gt_i32_e32 vcc_lo, 31, v8
	v_cndmask_b32_e32 v9, 0x7c00, v9, vcc_lo
	v_cmp_gt_i32_e32 vcc_lo, 31, v10
	v_cndmask_b32_e32 v4, 0x7c00, v4, vcc_lo
	v_cmp_eq_u32_e32 vcc_lo, 0x40f, v8
	v_cndmask_b32_e32 v2, v9, v2, vcc_lo
	v_cmp_eq_u32_e32 vcc_lo, 0x40f, v10
	v_and_or_b32 v2, 0x8000, v5, v2
	v_cndmask_b32_e32 v4, v4, v6, vcc_lo
	v_add_co_u32 v0, vcc_lo, v0, s4
	v_add_co_ci_u32_e32 v1, vcc_lo, s3, v1, vcc_lo
	v_and_or_b32 v4, 0x8000, v7, v4
	v_and_b32_e32 v2, 0xffff, v2
	v_lshl_or_b32 v2, v4, 16, v2
	v_lshrrev_b32_e32 v4, 16, v3
	global_store_dword v[0:1], v2, off
	global_load_dword v2, v63, s[12:13] offset:1680
	s_waitcnt vmcnt(0)
	v_mul_f16_sdwa v5, v4, v2 dst_sel:DWORD dst_unused:UNUSED_PAD src0_sel:DWORD src1_sel:WORD_1
	v_mul_f16_sdwa v6, v3, v2 dst_sel:DWORD dst_unused:UNUSED_PAD src0_sel:DWORD src1_sel:WORD_1
	v_fmac_f16_e32 v5, v3, v2
	v_fma_f16 v2, v2, v4, -v6
	v_cvt_f32_f16_e32 v3, v5
	v_cvt_f32_f16_e32 v4, v2
	v_cvt_f64_f32_e32 v[2:3], v3
	v_cvt_f64_f32_e32 v[4:5], v4
	v_mul_f64 v[2:3], v[2:3], s[8:9]
	v_mul_f64 v[4:5], v[4:5], s[8:9]
	v_and_or_b32 v2, 0x1ff, v3, v2
	v_and_or_b32 v4, 0x1ff, v5, v4
	v_lshrrev_b32_e32 v6, 8, v3
	v_bfe_u32 v7, v3, 20, 11
	v_lshrrev_b32_e32 v8, 8, v5
	v_cmp_ne_u32_e32 vcc_lo, 0, v2
	v_bfe_u32 v9, v5, 20, 11
	v_lshrrev_b32_e32 v3, 16, v3
	v_sub_nc_u32_e32 v10, 0x3f1, v7
	v_add_nc_u32_e32 v7, 0xfffffc10, v7
	v_cndmask_b32_e64 v2, 0, 1, vcc_lo
	v_cmp_ne_u32_e32 vcc_lo, 0, v4
	v_lshrrev_b32_e32 v5, 16, v5
	v_and_or_b32 v2, 0xffe, v6, v2
	v_cndmask_b32_e64 v4, 0, 1, vcc_lo
	v_sub_nc_u32_e32 v6, 0x3f1, v9
	v_add_nc_u32_e32 v9, 0xfffffc10, v9
	v_and_or_b32 v4, 0xffe, v8, v4
	v_med3_i32 v8, v10, 0, 13
	v_or_b32_e32 v10, 0x1000, v2
	v_med3_i32 v6, v6, 0, 13
	v_or_b32_e32 v11, 0x1000, v4
	v_lshrrev_b32_e32 v12, v8, v10
	v_lshrrev_b32_e32 v13, v6, v11
	v_lshlrev_b32_e32 v8, v8, v12
	v_lshlrev_b32_e32 v6, v6, v13
	v_cmp_ne_u32_e32 vcc_lo, v8, v10
	v_lshl_or_b32 v10, v7, 12, v2
	v_cndmask_b32_e64 v8, 0, 1, vcc_lo
	v_cmp_ne_u32_e32 vcc_lo, v6, v11
	v_lshl_or_b32 v11, v9, 12, v4
	v_or_b32_e32 v8, v12, v8
	v_cndmask_b32_e64 v6, 0, 1, vcc_lo
	v_cmp_gt_i32_e32 vcc_lo, 1, v7
	v_or_b32_e32 v6, v13, v6
	v_cndmask_b32_e32 v8, v10, v8, vcc_lo
	v_cmp_gt_i32_e32 vcc_lo, 1, v9
	v_and_b32_e32 v10, 7, v8
	v_cndmask_b32_e32 v6, v11, v6, vcc_lo
	v_cmp_ne_u32_e32 vcc_lo, 0, v2
	v_lshrrev_b32_e32 v8, 2, v8
	v_cmp_eq_u32_e64 s0, 3, v10
	v_and_b32_e32 v11, 7, v6
	v_cndmask_b32_e64 v2, 0, 1, vcc_lo
	v_cmp_ne_u32_e32 vcc_lo, 0, v4
	v_lshrrev_b32_e32 v6, 2, v6
	v_cmp_lt_i32_e64 s1, 5, v11
	v_cmp_eq_u32_e64 s2, 3, v11
	v_cndmask_b32_e64 v4, 0, 1, vcc_lo
	v_cmp_lt_i32_e32 vcc_lo, 5, v10
	v_lshl_or_b32 v2, v2, 9, 0x7c00
	v_lshl_or_b32 v4, v4, 9, 0x7c00
	s_or_b32 vcc_lo, s0, vcc_lo
	v_add_co_ci_u32_e32 v8, vcc_lo, 0, v8, vcc_lo
	s_or_b32 vcc_lo, s2, s1
	v_add_co_ci_u32_e32 v6, vcc_lo, 0, v6, vcc_lo
	v_cmp_gt_i32_e32 vcc_lo, 31, v7
	v_cndmask_b32_e32 v8, 0x7c00, v8, vcc_lo
	v_cmp_gt_i32_e32 vcc_lo, 31, v9
	v_cndmask_b32_e32 v6, 0x7c00, v6, vcc_lo
	v_cmp_eq_u32_e32 vcc_lo, 0x40f, v7
	v_cndmask_b32_e32 v2, v8, v2, vcc_lo
	v_cmp_eq_u32_e32 vcc_lo, 0x40f, v9
	v_cndmask_b32_e32 v4, v6, v4, vcc_lo
	v_and_or_b32 v6, 0x8000, v3, v2
	v_add_co_u32 v2, s0, s12, v63
	v_add_co_ci_u32_e64 v3, null, s13, 0, s0
	v_and_or_b32 v7, 0x8000, v5, v4
	v_and_b32_e32 v6, 0xffff, v6
	v_add_co_u32 v4, vcc_lo, v0, s4
	v_add_co_ci_u32_e32 v5, vcc_lo, s3, v1, vcc_lo
	v_add_co_u32 v0, vcc_lo, 0x800, v2
	v_lshl_or_b32 v6, v7, 16, v6
	v_add_co_ci_u32_e32 v1, vcc_lo, 0, v3, vcc_lo
	global_store_dword v[4:5], v6, off
	global_load_dword v8, v[0:1], off offset:52
	v_add_nc_u32_e32 v6, 0x800, v63
	ds_read2_b32 v[6:7], v6 offset0:13 offset1:118
	s_waitcnt lgkmcnt(0)
	v_lshrrev_b32_e32 v9, 16, v6
	s_waitcnt vmcnt(0)
	v_mul_f16_sdwa v10, v9, v8 dst_sel:DWORD dst_unused:UNUSED_PAD src0_sel:DWORD src1_sel:WORD_1
	v_mul_f16_sdwa v11, v6, v8 dst_sel:DWORD dst_unused:UNUSED_PAD src0_sel:DWORD src1_sel:WORD_1
	v_fmac_f16_e32 v10, v6, v8
	v_fma_f16 v6, v8, v9, -v11
	v_cvt_f32_f16_e32 v8, v10
	v_cvt_f32_f16_e32 v6, v6
	v_cvt_f64_f32_e32 v[8:9], v8
	v_cvt_f64_f32_e32 v[10:11], v6
	v_mul_f64 v[8:9], v[8:9], s[8:9]
	v_mul_f64 v[10:11], v[10:11], s[8:9]
	v_and_or_b32 v6, 0x1ff, v9, v8
	v_and_or_b32 v10, 0x1ff, v11, v10
	v_lshrrev_b32_e32 v8, 8, v9
	v_bfe_u32 v12, v9, 20, 11
	v_lshrrev_b32_e32 v13, 8, v11
	v_cmp_ne_u32_e32 vcc_lo, 0, v6
	v_bfe_u32 v14, v11, 20, 11
	v_lshrrev_b32_e32 v9, 16, v9
	v_sub_nc_u32_e32 v15, 0x3f1, v12
	v_add_nc_u32_e32 v12, 0xfffffc10, v12
	v_cndmask_b32_e64 v6, 0, 1, vcc_lo
	v_cmp_ne_u32_e32 vcc_lo, 0, v10
	v_lshrrev_b32_e32 v11, 16, v11
	v_and_or_b32 v6, 0xffe, v8, v6
	v_cndmask_b32_e64 v10, 0, 1, vcc_lo
	v_sub_nc_u32_e32 v8, 0x3f1, v14
	v_add_nc_u32_e32 v14, 0xfffffc10, v14
	v_and_or_b32 v10, 0xffe, v13, v10
	v_med3_i32 v13, v15, 0, 13
	v_or_b32_e32 v15, 0x1000, v6
	v_med3_i32 v8, v8, 0, 13
	v_or_b32_e32 v16, 0x1000, v10
	v_lshrrev_b32_e32 v17, v13, v15
	v_lshrrev_b32_e32 v18, v8, v16
	v_lshlrev_b32_e32 v13, v13, v17
	v_lshlrev_b32_e32 v8, v8, v18
	v_cmp_ne_u32_e32 vcc_lo, v13, v15
	v_lshl_or_b32 v15, v12, 12, v6
	v_cndmask_b32_e64 v13, 0, 1, vcc_lo
	v_cmp_ne_u32_e32 vcc_lo, v8, v16
	v_lshl_or_b32 v16, v14, 12, v10
	v_or_b32_e32 v13, v17, v13
	v_cndmask_b32_e64 v8, 0, 1, vcc_lo
	v_cmp_gt_i32_e32 vcc_lo, 1, v12
	v_or_b32_e32 v8, v18, v8
	v_cndmask_b32_e32 v13, v15, v13, vcc_lo
	v_cmp_gt_i32_e32 vcc_lo, 1, v14
	v_and_b32_e32 v15, 7, v13
	v_cndmask_b32_e32 v8, v16, v8, vcc_lo
	v_cmp_ne_u32_e32 vcc_lo, 0, v6
	v_lshrrev_b32_e32 v13, 2, v13
	v_cmp_eq_u32_e64 s0, 3, v15
	v_and_b32_e32 v16, 7, v8
	v_cndmask_b32_e64 v6, 0, 1, vcc_lo
	v_cmp_ne_u32_e32 vcc_lo, 0, v10
	v_lshrrev_b32_e32 v8, 2, v8
	v_cmp_lt_i32_e64 s1, 5, v16
	v_cmp_eq_u32_e64 s2, 3, v16
	v_cndmask_b32_e64 v10, 0, 1, vcc_lo
	v_cmp_lt_i32_e32 vcc_lo, 5, v15
	v_lshl_or_b32 v6, v6, 9, 0x7c00
	v_lshl_or_b32 v10, v10, 9, 0x7c00
	s_or_b32 vcc_lo, s0, vcc_lo
	v_add_co_ci_u32_e32 v13, vcc_lo, 0, v13, vcc_lo
	s_or_b32 vcc_lo, s2, s1
	v_add_co_ci_u32_e32 v8, vcc_lo, 0, v8, vcc_lo
	v_cmp_gt_i32_e32 vcc_lo, 31, v12
	v_cndmask_b32_e32 v13, 0x7c00, v13, vcc_lo
	v_cmp_gt_i32_e32 vcc_lo, 31, v14
	v_cndmask_b32_e32 v8, 0x7c00, v8, vcc_lo
	v_cmp_eq_u32_e32 vcc_lo, 0x40f, v12
	v_cndmask_b32_e32 v6, v13, v6, vcc_lo
	v_cmp_eq_u32_e32 vcc_lo, 0x40f, v14
	v_and_or_b32 v6, 0x8000, v9, v6
	v_cndmask_b32_e32 v8, v8, v10, vcc_lo
	v_add_co_u32 v4, vcc_lo, v4, s4
	v_add_co_ci_u32_e32 v5, vcc_lo, s3, v5, vcc_lo
	v_and_or_b32 v8, 0x8000, v11, v8
	v_and_b32_e32 v6, 0xffff, v6
	v_lshl_or_b32 v6, v8, 16, v6
	v_lshrrev_b32_e32 v8, 16, v7
	global_store_dword v[4:5], v6, off
	global_load_dword v6, v[0:1], off offset:472
	s_waitcnt vmcnt(0)
	v_mul_f16_sdwa v9, v8, v6 dst_sel:DWORD dst_unused:UNUSED_PAD src0_sel:DWORD src1_sel:WORD_1
	v_mul_f16_sdwa v10, v7, v6 dst_sel:DWORD dst_unused:UNUSED_PAD src0_sel:DWORD src1_sel:WORD_1
	v_fmac_f16_e32 v9, v7, v6
	v_fma_f16 v6, v6, v8, -v10
	v_cvt_f32_f16_e32 v7, v9
	v_cvt_f32_f16_e32 v8, v6
	v_cvt_f64_f32_e32 v[6:7], v7
	v_cvt_f64_f32_e32 v[8:9], v8
	v_mul_f64 v[6:7], v[6:7], s[8:9]
	v_mul_f64 v[8:9], v[8:9], s[8:9]
	v_and_or_b32 v6, 0x1ff, v7, v6
	v_and_or_b32 v8, 0x1ff, v9, v8
	v_lshrrev_b32_e32 v10, 8, v7
	v_bfe_u32 v11, v7, 20, 11
	v_lshrrev_b32_e32 v12, 8, v9
	v_cmp_ne_u32_e32 vcc_lo, 0, v6
	v_bfe_u32 v13, v9, 20, 11
	v_lshrrev_b32_e32 v7, 16, v7
	v_sub_nc_u32_e32 v14, 0x3f1, v11
	v_add_nc_u32_e32 v11, 0xfffffc10, v11
	v_cndmask_b32_e64 v6, 0, 1, vcc_lo
	v_cmp_ne_u32_e32 vcc_lo, 0, v8
	v_lshrrev_b32_e32 v9, 16, v9
	v_and_or_b32 v6, 0xffe, v10, v6
	v_cndmask_b32_e64 v8, 0, 1, vcc_lo
	v_sub_nc_u32_e32 v10, 0x3f1, v13
	v_add_nc_u32_e32 v13, 0xfffffc10, v13
	v_and_or_b32 v8, 0xffe, v12, v8
	v_med3_i32 v12, v14, 0, 13
	v_or_b32_e32 v14, 0x1000, v6
	v_med3_i32 v10, v10, 0, 13
	v_or_b32_e32 v15, 0x1000, v8
	v_lshrrev_b32_e32 v16, v12, v14
	v_lshrrev_b32_e32 v17, v10, v15
	v_lshlrev_b32_e32 v12, v12, v16
	v_lshlrev_b32_e32 v10, v10, v17
	v_cmp_ne_u32_e32 vcc_lo, v12, v14
	v_lshl_or_b32 v14, v11, 12, v6
	v_cndmask_b32_e64 v12, 0, 1, vcc_lo
	v_cmp_ne_u32_e32 vcc_lo, v10, v15
	v_lshl_or_b32 v15, v13, 12, v8
	v_or_b32_e32 v12, v16, v12
	v_cndmask_b32_e64 v10, 0, 1, vcc_lo
	v_cmp_gt_i32_e32 vcc_lo, 1, v11
	v_or_b32_e32 v10, v17, v10
	v_cndmask_b32_e32 v12, v14, v12, vcc_lo
	v_cmp_gt_i32_e32 vcc_lo, 1, v13
	v_and_b32_e32 v14, 7, v12
	v_cndmask_b32_e32 v10, v15, v10, vcc_lo
	v_cmp_ne_u32_e32 vcc_lo, 0, v6
	v_lshrrev_b32_e32 v12, 2, v12
	v_cmp_eq_u32_e64 s0, 3, v14
	v_and_b32_e32 v15, 7, v10
	v_cndmask_b32_e64 v6, 0, 1, vcc_lo
	v_cmp_ne_u32_e32 vcc_lo, 0, v8
	v_lshrrev_b32_e32 v10, 2, v10
	v_cmp_lt_i32_e64 s1, 5, v15
	v_cmp_eq_u32_e64 s2, 3, v15
	v_cndmask_b32_e64 v8, 0, 1, vcc_lo
	v_cmp_lt_i32_e32 vcc_lo, 5, v14
	v_lshl_or_b32 v6, v6, 9, 0x7c00
	v_lshl_or_b32 v8, v8, 9, 0x7c00
	s_or_b32 vcc_lo, s0, vcc_lo
	v_add_co_ci_u32_e32 v12, vcc_lo, 0, v12, vcc_lo
	s_or_b32 vcc_lo, s2, s1
	v_add_co_ci_u32_e32 v10, vcc_lo, 0, v10, vcc_lo
	v_cmp_gt_i32_e32 vcc_lo, 31, v11
	v_cndmask_b32_e32 v12, 0x7c00, v12, vcc_lo
	v_cmp_gt_i32_e32 vcc_lo, 31, v13
	v_cndmask_b32_e32 v10, 0x7c00, v10, vcc_lo
	v_cmp_eq_u32_e32 vcc_lo, 0x40f, v11
	v_cndmask_b32_e32 v6, v12, v6, vcc_lo
	v_cmp_eq_u32_e32 vcc_lo, 0x40f, v13
	v_and_or_b32 v6, 0x8000, v7, v6
	v_cndmask_b32_e32 v8, v10, v8, vcc_lo
	v_add_co_u32 v4, vcc_lo, v4, s4
	v_add_co_ci_u32_e32 v5, vcc_lo, s3, v5, vcc_lo
	v_and_or_b32 v7, 0x8000, v9, v8
	v_and_b32_e32 v6, 0xffff, v6
	v_lshl_or_b32 v6, v7, 16, v6
	global_store_dword v[4:5], v6, off
	global_load_dword v8, v[0:1], off offset:892
	v_add_nc_u32_e32 v6, 0xa00, v63
	ds_read2_b32 v[6:7], v6 offset0:95 offset1:200
	s_waitcnt lgkmcnt(0)
	v_lshrrev_b32_e32 v9, 16, v6
	s_waitcnt vmcnt(0)
	v_mul_f16_sdwa v10, v9, v8 dst_sel:DWORD dst_unused:UNUSED_PAD src0_sel:DWORD src1_sel:WORD_1
	v_mul_f16_sdwa v11, v6, v8 dst_sel:DWORD dst_unused:UNUSED_PAD src0_sel:DWORD src1_sel:WORD_1
	v_fmac_f16_e32 v10, v6, v8
	v_fma_f16 v6, v8, v9, -v11
	v_cvt_f32_f16_e32 v8, v10
	v_cvt_f32_f16_e32 v6, v6
	v_cvt_f64_f32_e32 v[8:9], v8
	v_cvt_f64_f32_e32 v[10:11], v6
	v_mul_f64 v[8:9], v[8:9], s[8:9]
	v_mul_f64 v[10:11], v[10:11], s[8:9]
	v_and_or_b32 v6, 0x1ff, v9, v8
	v_and_or_b32 v10, 0x1ff, v11, v10
	v_lshrrev_b32_e32 v8, 8, v9
	v_bfe_u32 v12, v9, 20, 11
	v_lshrrev_b32_e32 v13, 8, v11
	v_cmp_ne_u32_e32 vcc_lo, 0, v6
	v_bfe_u32 v14, v11, 20, 11
	v_lshrrev_b32_e32 v9, 16, v9
	v_sub_nc_u32_e32 v15, 0x3f1, v12
	v_add_nc_u32_e32 v12, 0xfffffc10, v12
	v_cndmask_b32_e64 v6, 0, 1, vcc_lo
	v_cmp_ne_u32_e32 vcc_lo, 0, v10
	v_lshrrev_b32_e32 v11, 16, v11
	v_and_or_b32 v6, 0xffe, v8, v6
	v_cndmask_b32_e64 v10, 0, 1, vcc_lo
	v_sub_nc_u32_e32 v8, 0x3f1, v14
	v_add_nc_u32_e32 v14, 0xfffffc10, v14
	v_and_or_b32 v10, 0xffe, v13, v10
	v_med3_i32 v13, v15, 0, 13
	v_or_b32_e32 v15, 0x1000, v6
	v_med3_i32 v8, v8, 0, 13
	v_or_b32_e32 v16, 0x1000, v10
	v_lshrrev_b32_e32 v17, v13, v15
	v_lshrrev_b32_e32 v18, v8, v16
	v_lshlrev_b32_e32 v13, v13, v17
	v_lshlrev_b32_e32 v8, v8, v18
	v_cmp_ne_u32_e32 vcc_lo, v13, v15
	v_lshl_or_b32 v15, v12, 12, v6
	v_cndmask_b32_e64 v13, 0, 1, vcc_lo
	v_cmp_ne_u32_e32 vcc_lo, v8, v16
	v_lshl_or_b32 v16, v14, 12, v10
	v_or_b32_e32 v13, v17, v13
	v_cndmask_b32_e64 v8, 0, 1, vcc_lo
	v_cmp_gt_i32_e32 vcc_lo, 1, v12
	v_or_b32_e32 v8, v18, v8
	v_cndmask_b32_e32 v13, v15, v13, vcc_lo
	v_cmp_gt_i32_e32 vcc_lo, 1, v14
	v_and_b32_e32 v15, 7, v13
	v_cndmask_b32_e32 v8, v16, v8, vcc_lo
	v_cmp_ne_u32_e32 vcc_lo, 0, v6
	v_lshrrev_b32_e32 v13, 2, v13
	v_cmp_eq_u32_e64 s0, 3, v15
	v_and_b32_e32 v16, 7, v8
	v_cndmask_b32_e64 v6, 0, 1, vcc_lo
	v_cmp_ne_u32_e32 vcc_lo, 0, v10
	v_lshrrev_b32_e32 v8, 2, v8
	v_cmp_lt_i32_e64 s1, 5, v16
	v_cmp_eq_u32_e64 s2, 3, v16
	v_cndmask_b32_e64 v10, 0, 1, vcc_lo
	v_cmp_lt_i32_e32 vcc_lo, 5, v15
	v_lshl_or_b32 v6, v6, 9, 0x7c00
	v_lshl_or_b32 v10, v10, 9, 0x7c00
	s_or_b32 vcc_lo, s0, vcc_lo
	v_add_co_ci_u32_e32 v13, vcc_lo, 0, v13, vcc_lo
	s_or_b32 vcc_lo, s2, s1
	v_add_co_ci_u32_e32 v8, vcc_lo, 0, v8, vcc_lo
	v_cmp_gt_i32_e32 vcc_lo, 31, v12
	v_cndmask_b32_e32 v13, 0x7c00, v13, vcc_lo
	v_cmp_gt_i32_e32 vcc_lo, 31, v14
	v_cndmask_b32_e32 v8, 0x7c00, v8, vcc_lo
	v_cmp_eq_u32_e32 vcc_lo, 0x40f, v12
	v_cndmask_b32_e32 v6, v13, v6, vcc_lo
	v_cmp_eq_u32_e32 vcc_lo, 0x40f, v14
	v_and_or_b32 v6, 0x8000, v9, v6
	v_cndmask_b32_e32 v8, v8, v10, vcc_lo
	v_add_co_u32 v4, vcc_lo, v4, s4
	v_add_co_ci_u32_e32 v5, vcc_lo, s3, v5, vcc_lo
	v_and_or_b32 v8, 0x8000, v11, v8
	v_and_b32_e32 v6, 0xffff, v6
	v_lshl_or_b32 v6, v8, 16, v6
	v_lshrrev_b32_e32 v8, 16, v7
	global_store_dword v[4:5], v6, off
	global_load_dword v6, v[0:1], off offset:1312
	s_waitcnt vmcnt(0)
	v_mul_f16_sdwa v9, v8, v6 dst_sel:DWORD dst_unused:UNUSED_PAD src0_sel:DWORD src1_sel:WORD_1
	v_mul_f16_sdwa v10, v7, v6 dst_sel:DWORD dst_unused:UNUSED_PAD src0_sel:DWORD src1_sel:WORD_1
	v_fmac_f16_e32 v9, v7, v6
	v_fma_f16 v6, v6, v8, -v10
	v_cvt_f32_f16_e32 v7, v9
	v_cvt_f32_f16_e32 v8, v6
	v_cvt_f64_f32_e32 v[6:7], v7
	v_cvt_f64_f32_e32 v[8:9], v8
	v_mul_f64 v[6:7], v[6:7], s[8:9]
	v_mul_f64 v[8:9], v[8:9], s[8:9]
	v_and_or_b32 v6, 0x1ff, v7, v6
	v_and_or_b32 v8, 0x1ff, v9, v8
	v_lshrrev_b32_e32 v10, 8, v7
	v_bfe_u32 v11, v7, 20, 11
	v_lshrrev_b32_e32 v12, 8, v9
	v_cmp_ne_u32_e32 vcc_lo, 0, v6
	v_bfe_u32 v13, v9, 20, 11
	v_lshrrev_b32_e32 v7, 16, v7
	v_sub_nc_u32_e32 v14, 0x3f1, v11
	v_add_nc_u32_e32 v11, 0xfffffc10, v11
	v_cndmask_b32_e64 v6, 0, 1, vcc_lo
	v_cmp_ne_u32_e32 vcc_lo, 0, v8
	v_lshrrev_b32_e32 v9, 16, v9
	v_and_or_b32 v6, 0xffe, v10, v6
	v_cndmask_b32_e64 v8, 0, 1, vcc_lo
	v_sub_nc_u32_e32 v10, 0x3f1, v13
	v_add_nc_u32_e32 v13, 0xfffffc10, v13
	v_and_or_b32 v8, 0xffe, v12, v8
	v_med3_i32 v12, v14, 0, 13
	v_or_b32_e32 v14, 0x1000, v6
	v_med3_i32 v10, v10, 0, 13
	v_or_b32_e32 v15, 0x1000, v8
	v_lshrrev_b32_e32 v16, v12, v14
	v_lshrrev_b32_e32 v17, v10, v15
	v_lshlrev_b32_e32 v12, v12, v16
	v_lshlrev_b32_e32 v10, v10, v17
	v_cmp_ne_u32_e32 vcc_lo, v12, v14
	v_lshl_or_b32 v14, v11, 12, v6
	v_cndmask_b32_e64 v12, 0, 1, vcc_lo
	v_cmp_ne_u32_e32 vcc_lo, v10, v15
	v_lshl_or_b32 v15, v13, 12, v8
	v_or_b32_e32 v12, v16, v12
	v_cndmask_b32_e64 v10, 0, 1, vcc_lo
	v_cmp_gt_i32_e32 vcc_lo, 1, v11
	v_or_b32_e32 v10, v17, v10
	v_cndmask_b32_e32 v12, v14, v12, vcc_lo
	v_cmp_gt_i32_e32 vcc_lo, 1, v13
	v_and_b32_e32 v14, 7, v12
	v_cndmask_b32_e32 v10, v15, v10, vcc_lo
	v_cmp_ne_u32_e32 vcc_lo, 0, v6
	v_lshrrev_b32_e32 v12, 2, v12
	v_cmp_eq_u32_e64 s0, 3, v14
	v_and_b32_e32 v15, 7, v10
	v_cndmask_b32_e64 v6, 0, 1, vcc_lo
	v_cmp_ne_u32_e32 vcc_lo, 0, v8
	v_lshrrev_b32_e32 v10, 2, v10
	v_cmp_lt_i32_e64 s1, 5, v15
	v_cmp_eq_u32_e64 s2, 3, v15
	v_cndmask_b32_e64 v8, 0, 1, vcc_lo
	v_cmp_lt_i32_e32 vcc_lo, 5, v14
	v_lshl_or_b32 v6, v6, 9, 0x7c00
	v_lshl_or_b32 v8, v8, 9, 0x7c00
	s_or_b32 vcc_lo, s0, vcc_lo
	v_add_co_ci_u32_e32 v12, vcc_lo, 0, v12, vcc_lo
	s_or_b32 vcc_lo, s2, s1
	v_add_co_ci_u32_e32 v10, vcc_lo, 0, v10, vcc_lo
	v_cmp_gt_i32_e32 vcc_lo, 31, v11
	v_cndmask_b32_e32 v12, 0x7c00, v12, vcc_lo
	v_cmp_gt_i32_e32 vcc_lo, 31, v13
	v_cndmask_b32_e32 v10, 0x7c00, v10, vcc_lo
	v_cmp_eq_u32_e32 vcc_lo, 0x40f, v11
	v_cndmask_b32_e32 v6, v12, v6, vcc_lo
	v_cmp_eq_u32_e32 vcc_lo, 0x40f, v13
	v_and_or_b32 v6, 0x8000, v7, v6
	v_cndmask_b32_e32 v8, v10, v8, vcc_lo
	v_add_co_u32 v4, vcc_lo, v4, s4
	v_add_co_ci_u32_e32 v5, vcc_lo, s3, v5, vcc_lo
	v_and_or_b32 v7, 0x8000, v9, v8
	v_and_b32_e32 v6, 0xffff, v6
	v_lshl_or_b32 v6, v7, 16, v6
	global_store_dword v[4:5], v6, off
	global_load_dword v0, v[0:1], off offset:1732
	v_add_nc_u32_e32 v1, 0xe00, v63
	ds_read2_b32 v[6:7], v1 offset0:49 offset1:154
	s_waitcnt lgkmcnt(0)
	v_lshrrev_b32_e32 v1, 16, v6
	s_waitcnt vmcnt(0)
	v_mul_f16_sdwa v8, v1, v0 dst_sel:DWORD dst_unused:UNUSED_PAD src0_sel:DWORD src1_sel:WORD_1
	v_mul_f16_sdwa v9, v6, v0 dst_sel:DWORD dst_unused:UNUSED_PAD src0_sel:DWORD src1_sel:WORD_1
	v_fmac_f16_e32 v8, v6, v0
	v_fma_f16 v0, v0, v1, -v9
	v_cvt_f32_f16_e32 v1, v8
	v_cvt_f32_f16_e32 v6, v0
	v_cvt_f64_f32_e32 v[0:1], v1
	v_cvt_f64_f32_e32 v[8:9], v6
	v_mul_f64 v[0:1], v[0:1], s[8:9]
	v_mul_f64 v[8:9], v[8:9], s[8:9]
	v_and_or_b32 v0, 0x1ff, v1, v0
	v_and_or_b32 v8, 0x1ff, v9, v8
	v_lshrrev_b32_e32 v6, 8, v1
	v_bfe_u32 v10, v1, 20, 11
	v_lshrrev_b32_e32 v11, 8, v9
	v_cmp_ne_u32_e32 vcc_lo, 0, v0
	v_bfe_u32 v12, v9, 20, 11
	v_lshrrev_b32_e32 v1, 16, v1
	v_sub_nc_u32_e32 v13, 0x3f1, v10
	v_add_nc_u32_e32 v10, 0xfffffc10, v10
	v_cndmask_b32_e64 v0, 0, 1, vcc_lo
	v_cmp_ne_u32_e32 vcc_lo, 0, v8
	v_lshrrev_b32_e32 v9, 16, v9
	v_and_or_b32 v0, 0xffe, v6, v0
	v_cndmask_b32_e64 v8, 0, 1, vcc_lo
	v_sub_nc_u32_e32 v6, 0x3f1, v12
	v_add_nc_u32_e32 v12, 0xfffffc10, v12
	v_and_or_b32 v8, 0xffe, v11, v8
	v_med3_i32 v11, v13, 0, 13
	v_or_b32_e32 v13, 0x1000, v0
	v_med3_i32 v6, v6, 0, 13
	v_or_b32_e32 v14, 0x1000, v8
	v_lshrrev_b32_e32 v15, v11, v13
	v_lshrrev_b32_e32 v16, v6, v14
	v_lshlrev_b32_e32 v11, v11, v15
	v_lshlrev_b32_e32 v6, v6, v16
	v_cmp_ne_u32_e32 vcc_lo, v11, v13
	v_lshl_or_b32 v13, v10, 12, v0
	v_cndmask_b32_e64 v11, 0, 1, vcc_lo
	v_cmp_ne_u32_e32 vcc_lo, v6, v14
	v_lshl_or_b32 v14, v12, 12, v8
	v_or_b32_e32 v11, v15, v11
	v_cndmask_b32_e64 v6, 0, 1, vcc_lo
	v_cmp_gt_i32_e32 vcc_lo, 1, v10
	v_or_b32_e32 v6, v16, v6
	v_cndmask_b32_e32 v11, v13, v11, vcc_lo
	v_cmp_gt_i32_e32 vcc_lo, 1, v12
	v_and_b32_e32 v13, 7, v11
	v_cndmask_b32_e32 v6, v14, v6, vcc_lo
	v_cmp_ne_u32_e32 vcc_lo, 0, v0
	v_lshrrev_b32_e32 v11, 2, v11
	v_cmp_eq_u32_e64 s0, 3, v13
	v_and_b32_e32 v14, 7, v6
	v_cndmask_b32_e64 v0, 0, 1, vcc_lo
	v_cmp_ne_u32_e32 vcc_lo, 0, v8
	v_lshrrev_b32_e32 v6, 2, v6
	v_cmp_lt_i32_e64 s1, 5, v14
	v_cmp_eq_u32_e64 s2, 3, v14
	v_cndmask_b32_e64 v8, 0, 1, vcc_lo
	v_cmp_lt_i32_e32 vcc_lo, 5, v13
	v_lshl_or_b32 v0, v0, 9, 0x7c00
	v_lshl_or_b32 v8, v8, 9, 0x7c00
	s_or_b32 vcc_lo, s0, vcc_lo
	v_add_co_ci_u32_e32 v11, vcc_lo, 0, v11, vcc_lo
	s_or_b32 vcc_lo, s2, s1
	v_add_co_ci_u32_e32 v6, vcc_lo, 0, v6, vcc_lo
	v_cmp_gt_i32_e32 vcc_lo, 31, v10
	v_cndmask_b32_e32 v11, 0x7c00, v11, vcc_lo
	v_cmp_gt_i32_e32 vcc_lo, 31, v12
	v_cndmask_b32_e32 v6, 0x7c00, v6, vcc_lo
	v_cmp_eq_u32_e32 vcc_lo, 0x40f, v10
	v_cndmask_b32_e32 v0, v11, v0, vcc_lo
	v_cmp_eq_u32_e32 vcc_lo, 0x40f, v12
	v_and_or_b32 v0, 0x8000, v1, v0
	v_cndmask_b32_e32 v6, v6, v8, vcc_lo
	v_add_co_u32 v4, vcc_lo, v4, s4
	v_add_co_ci_u32_e32 v5, vcc_lo, s3, v5, vcc_lo
	v_and_or_b32 v1, 0x8000, v9, v6
	v_and_b32_e32 v0, 0xffff, v0
	v_lshrrev_b32_e32 v8, 16, v7
	v_lshl_or_b32 v6, v1, 16, v0
	v_add_co_u32 v0, vcc_lo, 0x1000, v2
	v_add_co_ci_u32_e32 v1, vcc_lo, 0, v3, vcc_lo
	global_store_dword v[4:5], v6, off
	global_load_dword v6, v[0:1], off offset:104
	s_waitcnt vmcnt(0)
	v_mul_f16_sdwa v9, v8, v6 dst_sel:DWORD dst_unused:UNUSED_PAD src0_sel:DWORD src1_sel:WORD_1
	v_mul_f16_sdwa v10, v7, v6 dst_sel:DWORD dst_unused:UNUSED_PAD src0_sel:DWORD src1_sel:WORD_1
	v_fmac_f16_e32 v9, v7, v6
	v_fma_f16 v6, v6, v8, -v10
	v_cvt_f32_f16_e32 v7, v9
	v_cvt_f32_f16_e32 v8, v6
	v_cvt_f64_f32_e32 v[6:7], v7
	v_cvt_f64_f32_e32 v[8:9], v8
	v_mul_f64 v[6:7], v[6:7], s[8:9]
	v_mul_f64 v[8:9], v[8:9], s[8:9]
	v_and_or_b32 v6, 0x1ff, v7, v6
	v_and_or_b32 v8, 0x1ff, v9, v8
	v_lshrrev_b32_e32 v10, 8, v7
	v_bfe_u32 v11, v7, 20, 11
	v_lshrrev_b32_e32 v12, 8, v9
	v_cmp_ne_u32_e32 vcc_lo, 0, v6
	v_bfe_u32 v13, v9, 20, 11
	v_lshrrev_b32_e32 v7, 16, v7
	v_sub_nc_u32_e32 v14, 0x3f1, v11
	v_add_nc_u32_e32 v11, 0xfffffc10, v11
	v_cndmask_b32_e64 v6, 0, 1, vcc_lo
	v_cmp_ne_u32_e32 vcc_lo, 0, v8
	v_lshrrev_b32_e32 v9, 16, v9
	v_and_or_b32 v6, 0xffe, v10, v6
	v_cndmask_b32_e64 v8, 0, 1, vcc_lo
	v_sub_nc_u32_e32 v10, 0x3f1, v13
	v_add_nc_u32_e32 v13, 0xfffffc10, v13
	v_and_or_b32 v8, 0xffe, v12, v8
	v_med3_i32 v12, v14, 0, 13
	v_or_b32_e32 v14, 0x1000, v6
	v_med3_i32 v10, v10, 0, 13
	v_or_b32_e32 v15, 0x1000, v8
	v_lshrrev_b32_e32 v16, v12, v14
	v_lshrrev_b32_e32 v17, v10, v15
	v_lshlrev_b32_e32 v12, v12, v16
	v_lshlrev_b32_e32 v10, v10, v17
	v_cmp_ne_u32_e32 vcc_lo, v12, v14
	v_lshl_or_b32 v14, v11, 12, v6
	v_cndmask_b32_e64 v12, 0, 1, vcc_lo
	v_cmp_ne_u32_e32 vcc_lo, v10, v15
	v_lshl_or_b32 v15, v13, 12, v8
	v_or_b32_e32 v12, v16, v12
	v_cndmask_b32_e64 v10, 0, 1, vcc_lo
	v_cmp_gt_i32_e32 vcc_lo, 1, v11
	v_or_b32_e32 v10, v17, v10
	v_cndmask_b32_e32 v12, v14, v12, vcc_lo
	v_cmp_gt_i32_e32 vcc_lo, 1, v13
	v_and_b32_e32 v14, 7, v12
	v_cndmask_b32_e32 v10, v15, v10, vcc_lo
	v_cmp_ne_u32_e32 vcc_lo, 0, v6
	v_lshrrev_b32_e32 v12, 2, v12
	v_cmp_eq_u32_e64 s0, 3, v14
	v_and_b32_e32 v15, 7, v10
	v_cndmask_b32_e64 v6, 0, 1, vcc_lo
	v_cmp_ne_u32_e32 vcc_lo, 0, v8
	v_lshrrev_b32_e32 v10, 2, v10
	v_cmp_lt_i32_e64 s1, 5, v15
	v_cmp_eq_u32_e64 s2, 3, v15
	v_cndmask_b32_e64 v8, 0, 1, vcc_lo
	v_cmp_lt_i32_e32 vcc_lo, 5, v14
	v_lshl_or_b32 v6, v6, 9, 0x7c00
	v_lshl_or_b32 v8, v8, 9, 0x7c00
	s_or_b32 vcc_lo, s0, vcc_lo
	v_add_co_ci_u32_e32 v12, vcc_lo, 0, v12, vcc_lo
	s_or_b32 vcc_lo, s2, s1
	v_add_co_ci_u32_e32 v10, vcc_lo, 0, v10, vcc_lo
	v_cmp_gt_i32_e32 vcc_lo, 31, v11
	v_cndmask_b32_e32 v12, 0x7c00, v12, vcc_lo
	v_cmp_gt_i32_e32 vcc_lo, 31, v13
	v_cndmask_b32_e32 v10, 0x7c00, v10, vcc_lo
	v_cmp_eq_u32_e32 vcc_lo, 0x40f, v11
	v_cndmask_b32_e32 v6, v12, v6, vcc_lo
	v_cmp_eq_u32_e32 vcc_lo, 0x40f, v13
	v_and_or_b32 v6, 0x8000, v7, v6
	v_cndmask_b32_e32 v8, v10, v8, vcc_lo
	v_add_co_u32 v4, vcc_lo, v4, s4
	v_add_co_ci_u32_e32 v5, vcc_lo, s3, v5, vcc_lo
	v_and_or_b32 v7, 0x8000, v9, v8
	v_and_b32_e32 v6, 0xffff, v6
	v_lshl_or_b32 v6, v7, 16, v6
	global_store_dword v[4:5], v6, off
	global_load_dword v8, v[0:1], off offset:524
	v_add_nc_u32_e32 v6, 0x1000, v63
	ds_read2_b32 v[6:7], v6 offset0:131 offset1:236
	s_waitcnt lgkmcnt(0)
	v_lshrrev_b32_e32 v9, 16, v6
	s_waitcnt vmcnt(0)
	v_mul_f16_sdwa v10, v9, v8 dst_sel:DWORD dst_unused:UNUSED_PAD src0_sel:DWORD src1_sel:WORD_1
	v_mul_f16_sdwa v11, v6, v8 dst_sel:DWORD dst_unused:UNUSED_PAD src0_sel:DWORD src1_sel:WORD_1
	v_fmac_f16_e32 v10, v6, v8
	v_fma_f16 v6, v8, v9, -v11
	v_cvt_f32_f16_e32 v8, v10
	v_cvt_f32_f16_e32 v6, v6
	v_cvt_f64_f32_e32 v[8:9], v8
	v_cvt_f64_f32_e32 v[10:11], v6
	v_mul_f64 v[8:9], v[8:9], s[8:9]
	v_mul_f64 v[10:11], v[10:11], s[8:9]
	v_and_or_b32 v6, 0x1ff, v9, v8
	v_and_or_b32 v10, 0x1ff, v11, v10
	v_lshrrev_b32_e32 v8, 8, v9
	v_bfe_u32 v12, v9, 20, 11
	v_lshrrev_b32_e32 v13, 8, v11
	v_cmp_ne_u32_e32 vcc_lo, 0, v6
	v_bfe_u32 v14, v11, 20, 11
	v_lshrrev_b32_e32 v9, 16, v9
	v_sub_nc_u32_e32 v15, 0x3f1, v12
	v_add_nc_u32_e32 v12, 0xfffffc10, v12
	v_cndmask_b32_e64 v6, 0, 1, vcc_lo
	v_cmp_ne_u32_e32 vcc_lo, 0, v10
	v_lshrrev_b32_e32 v11, 16, v11
	v_and_or_b32 v6, 0xffe, v8, v6
	v_cndmask_b32_e64 v10, 0, 1, vcc_lo
	v_sub_nc_u32_e32 v8, 0x3f1, v14
	v_add_nc_u32_e32 v14, 0xfffffc10, v14
	v_and_or_b32 v10, 0xffe, v13, v10
	v_med3_i32 v13, v15, 0, 13
	v_or_b32_e32 v15, 0x1000, v6
	v_med3_i32 v8, v8, 0, 13
	v_or_b32_e32 v16, 0x1000, v10
	v_lshrrev_b32_e32 v17, v13, v15
	v_lshrrev_b32_e32 v18, v8, v16
	v_lshlrev_b32_e32 v13, v13, v17
	v_lshlrev_b32_e32 v8, v8, v18
	v_cmp_ne_u32_e32 vcc_lo, v13, v15
	v_lshl_or_b32 v15, v12, 12, v6
	v_cndmask_b32_e64 v13, 0, 1, vcc_lo
	v_cmp_ne_u32_e32 vcc_lo, v8, v16
	v_lshl_or_b32 v16, v14, 12, v10
	v_or_b32_e32 v13, v17, v13
	v_cndmask_b32_e64 v8, 0, 1, vcc_lo
	v_cmp_gt_i32_e32 vcc_lo, 1, v12
	v_or_b32_e32 v8, v18, v8
	v_cndmask_b32_e32 v13, v15, v13, vcc_lo
	v_cmp_gt_i32_e32 vcc_lo, 1, v14
	v_and_b32_e32 v15, 7, v13
	v_cndmask_b32_e32 v8, v16, v8, vcc_lo
	v_cmp_ne_u32_e32 vcc_lo, 0, v6
	v_lshrrev_b32_e32 v13, 2, v13
	v_cmp_eq_u32_e64 s0, 3, v15
	v_and_b32_e32 v16, 7, v8
	v_cndmask_b32_e64 v6, 0, 1, vcc_lo
	v_cmp_ne_u32_e32 vcc_lo, 0, v10
	v_lshrrev_b32_e32 v8, 2, v8
	v_cmp_lt_i32_e64 s1, 5, v16
	v_cmp_eq_u32_e64 s2, 3, v16
	v_cndmask_b32_e64 v10, 0, 1, vcc_lo
	v_cmp_lt_i32_e32 vcc_lo, 5, v15
	v_lshl_or_b32 v6, v6, 9, 0x7c00
	v_lshl_or_b32 v10, v10, 9, 0x7c00
	s_or_b32 vcc_lo, s0, vcc_lo
	v_add_co_ci_u32_e32 v13, vcc_lo, 0, v13, vcc_lo
	s_or_b32 vcc_lo, s2, s1
	v_add_co_ci_u32_e32 v8, vcc_lo, 0, v8, vcc_lo
	v_cmp_gt_i32_e32 vcc_lo, 31, v12
	v_cndmask_b32_e32 v13, 0x7c00, v13, vcc_lo
	v_cmp_gt_i32_e32 vcc_lo, 31, v14
	v_cndmask_b32_e32 v8, 0x7c00, v8, vcc_lo
	v_cmp_eq_u32_e32 vcc_lo, 0x40f, v12
	v_cndmask_b32_e32 v6, v13, v6, vcc_lo
	v_cmp_eq_u32_e32 vcc_lo, 0x40f, v14
	v_and_or_b32 v6, 0x8000, v9, v6
	v_cndmask_b32_e32 v8, v8, v10, vcc_lo
	v_add_co_u32 v4, vcc_lo, v4, s4
	v_add_co_ci_u32_e32 v5, vcc_lo, s3, v5, vcc_lo
	v_and_or_b32 v8, 0x8000, v11, v8
	v_and_b32_e32 v6, 0xffff, v6
	v_lshl_or_b32 v6, v8, 16, v6
	v_lshrrev_b32_e32 v8, 16, v7
	global_store_dword v[4:5], v6, off
	global_load_dword v6, v[0:1], off offset:944
	s_waitcnt vmcnt(0)
	v_mul_f16_sdwa v9, v8, v6 dst_sel:DWORD dst_unused:UNUSED_PAD src0_sel:DWORD src1_sel:WORD_1
	v_mul_f16_sdwa v10, v7, v6 dst_sel:DWORD dst_unused:UNUSED_PAD src0_sel:DWORD src1_sel:WORD_1
	v_fmac_f16_e32 v9, v7, v6
	v_fma_f16 v6, v6, v8, -v10
	v_cvt_f32_f16_e32 v7, v9
	v_cvt_f32_f16_e32 v8, v6
	v_cvt_f64_f32_e32 v[6:7], v7
	v_cvt_f64_f32_e32 v[8:9], v8
	v_mul_f64 v[6:7], v[6:7], s[8:9]
	v_mul_f64 v[8:9], v[8:9], s[8:9]
	v_and_or_b32 v6, 0x1ff, v7, v6
	v_and_or_b32 v8, 0x1ff, v9, v8
	v_lshrrev_b32_e32 v10, 8, v7
	v_bfe_u32 v11, v7, 20, 11
	v_lshrrev_b32_e32 v12, 8, v9
	v_cmp_ne_u32_e32 vcc_lo, 0, v6
	v_bfe_u32 v13, v9, 20, 11
	v_lshrrev_b32_e32 v7, 16, v7
	v_sub_nc_u32_e32 v14, 0x3f1, v11
	v_add_nc_u32_e32 v11, 0xfffffc10, v11
	v_cndmask_b32_e64 v6, 0, 1, vcc_lo
	v_cmp_ne_u32_e32 vcc_lo, 0, v8
	v_lshrrev_b32_e32 v9, 16, v9
	v_and_or_b32 v6, 0xffe, v10, v6
	v_cndmask_b32_e64 v8, 0, 1, vcc_lo
	v_sub_nc_u32_e32 v10, 0x3f1, v13
	v_add_nc_u32_e32 v13, 0xfffffc10, v13
	v_and_or_b32 v8, 0xffe, v12, v8
	v_med3_i32 v12, v14, 0, 13
	v_or_b32_e32 v14, 0x1000, v6
	v_med3_i32 v10, v10, 0, 13
	v_or_b32_e32 v15, 0x1000, v8
	v_lshrrev_b32_e32 v16, v12, v14
	v_lshrrev_b32_e32 v17, v10, v15
	v_lshlrev_b32_e32 v12, v12, v16
	v_lshlrev_b32_e32 v10, v10, v17
	v_cmp_ne_u32_e32 vcc_lo, v12, v14
	v_lshl_or_b32 v14, v11, 12, v6
	v_cndmask_b32_e64 v12, 0, 1, vcc_lo
	v_cmp_ne_u32_e32 vcc_lo, v10, v15
	v_lshl_or_b32 v15, v13, 12, v8
	v_or_b32_e32 v12, v16, v12
	v_cndmask_b32_e64 v10, 0, 1, vcc_lo
	v_cmp_gt_i32_e32 vcc_lo, 1, v11
	v_or_b32_e32 v10, v17, v10
	v_cndmask_b32_e32 v12, v14, v12, vcc_lo
	v_cmp_gt_i32_e32 vcc_lo, 1, v13
	v_and_b32_e32 v14, 7, v12
	v_cndmask_b32_e32 v10, v15, v10, vcc_lo
	v_cmp_ne_u32_e32 vcc_lo, 0, v6
	v_lshrrev_b32_e32 v12, 2, v12
	v_cmp_eq_u32_e64 s0, 3, v14
	v_and_b32_e32 v15, 7, v10
	v_cndmask_b32_e64 v6, 0, 1, vcc_lo
	v_cmp_ne_u32_e32 vcc_lo, 0, v8
	v_lshrrev_b32_e32 v10, 2, v10
	v_cmp_lt_i32_e64 s1, 5, v15
	v_cmp_eq_u32_e64 s2, 3, v15
	v_cndmask_b32_e64 v8, 0, 1, vcc_lo
	v_cmp_lt_i32_e32 vcc_lo, 5, v14
	v_lshl_or_b32 v6, v6, 9, 0x7c00
	v_lshl_or_b32 v8, v8, 9, 0x7c00
	s_or_b32 vcc_lo, s0, vcc_lo
	v_add_co_ci_u32_e32 v12, vcc_lo, 0, v12, vcc_lo
	s_or_b32 vcc_lo, s2, s1
	v_add_co_ci_u32_e32 v10, vcc_lo, 0, v10, vcc_lo
	v_cmp_gt_i32_e32 vcc_lo, 31, v11
	v_cndmask_b32_e32 v12, 0x7c00, v12, vcc_lo
	v_cmp_gt_i32_e32 vcc_lo, 31, v13
	v_cndmask_b32_e32 v10, 0x7c00, v10, vcc_lo
	v_cmp_eq_u32_e32 vcc_lo, 0x40f, v11
	v_cndmask_b32_e32 v6, v12, v6, vcc_lo
	v_cmp_eq_u32_e32 vcc_lo, 0x40f, v13
	v_and_or_b32 v6, 0x8000, v7, v6
	v_cndmask_b32_e32 v8, v10, v8, vcc_lo
	v_add_co_u32 v4, vcc_lo, v4, s4
	v_add_co_ci_u32_e32 v5, vcc_lo, s3, v5, vcc_lo
	v_and_or_b32 v7, 0x8000, v9, v8
	v_and_b32_e32 v6, 0xffff, v6
	v_lshl_or_b32 v6, v7, 16, v6
	global_store_dword v[4:5], v6, off
	global_load_dword v8, v[0:1], off offset:1364
	v_add_nc_u32_e32 v6, 0x1400, v63
	ds_read2_b32 v[6:7], v6 offset0:85 offset1:190
	s_waitcnt lgkmcnt(0)
	v_lshrrev_b32_e32 v9, 16, v6
	s_waitcnt vmcnt(0)
	v_mul_f16_sdwa v10, v9, v8 dst_sel:DWORD dst_unused:UNUSED_PAD src0_sel:DWORD src1_sel:WORD_1
	v_mul_f16_sdwa v11, v6, v8 dst_sel:DWORD dst_unused:UNUSED_PAD src0_sel:DWORD src1_sel:WORD_1
	v_fmac_f16_e32 v10, v6, v8
	v_fma_f16 v6, v8, v9, -v11
	v_cvt_f32_f16_e32 v8, v10
	v_cvt_f32_f16_e32 v6, v6
	v_cvt_f64_f32_e32 v[8:9], v8
	v_cvt_f64_f32_e32 v[10:11], v6
	v_mul_f64 v[8:9], v[8:9], s[8:9]
	v_mul_f64 v[10:11], v[10:11], s[8:9]
	v_and_or_b32 v6, 0x1ff, v9, v8
	v_and_or_b32 v10, 0x1ff, v11, v10
	v_lshrrev_b32_e32 v8, 8, v9
	v_bfe_u32 v12, v9, 20, 11
	v_lshrrev_b32_e32 v13, 8, v11
	v_cmp_ne_u32_e32 vcc_lo, 0, v6
	v_bfe_u32 v14, v11, 20, 11
	v_lshrrev_b32_e32 v9, 16, v9
	v_sub_nc_u32_e32 v15, 0x3f1, v12
	v_add_nc_u32_e32 v12, 0xfffffc10, v12
	v_cndmask_b32_e64 v6, 0, 1, vcc_lo
	v_cmp_ne_u32_e32 vcc_lo, 0, v10
	v_lshrrev_b32_e32 v11, 16, v11
	v_and_or_b32 v6, 0xffe, v8, v6
	v_cndmask_b32_e64 v10, 0, 1, vcc_lo
	v_sub_nc_u32_e32 v8, 0x3f1, v14
	v_add_nc_u32_e32 v14, 0xfffffc10, v14
	v_and_or_b32 v10, 0xffe, v13, v10
	v_med3_i32 v13, v15, 0, 13
	v_or_b32_e32 v15, 0x1000, v6
	v_med3_i32 v8, v8, 0, 13
	v_or_b32_e32 v16, 0x1000, v10
	v_lshrrev_b32_e32 v17, v13, v15
	v_lshrrev_b32_e32 v18, v8, v16
	v_lshlrev_b32_e32 v13, v13, v17
	v_lshlrev_b32_e32 v8, v8, v18
	v_cmp_ne_u32_e32 vcc_lo, v13, v15
	v_lshl_or_b32 v15, v12, 12, v6
	v_cndmask_b32_e64 v13, 0, 1, vcc_lo
	v_cmp_ne_u32_e32 vcc_lo, v8, v16
	v_lshl_or_b32 v16, v14, 12, v10
	v_or_b32_e32 v13, v17, v13
	v_cndmask_b32_e64 v8, 0, 1, vcc_lo
	v_cmp_gt_i32_e32 vcc_lo, 1, v12
	v_or_b32_e32 v8, v18, v8
	v_cndmask_b32_e32 v13, v15, v13, vcc_lo
	v_cmp_gt_i32_e32 vcc_lo, 1, v14
	v_and_b32_e32 v15, 7, v13
	v_cndmask_b32_e32 v8, v16, v8, vcc_lo
	v_cmp_ne_u32_e32 vcc_lo, 0, v6
	v_lshrrev_b32_e32 v13, 2, v13
	v_cmp_eq_u32_e64 s0, 3, v15
	v_and_b32_e32 v16, 7, v8
	v_cndmask_b32_e64 v6, 0, 1, vcc_lo
	v_cmp_ne_u32_e32 vcc_lo, 0, v10
	v_lshrrev_b32_e32 v8, 2, v8
	v_cmp_lt_i32_e64 s1, 5, v16
	v_cmp_eq_u32_e64 s2, 3, v16
	v_cndmask_b32_e64 v10, 0, 1, vcc_lo
	v_cmp_lt_i32_e32 vcc_lo, 5, v15
	v_lshl_or_b32 v6, v6, 9, 0x7c00
	v_lshl_or_b32 v10, v10, 9, 0x7c00
	s_or_b32 vcc_lo, s0, vcc_lo
	v_add_co_ci_u32_e32 v13, vcc_lo, 0, v13, vcc_lo
	s_or_b32 vcc_lo, s2, s1
	v_add_co_ci_u32_e32 v8, vcc_lo, 0, v8, vcc_lo
	v_cmp_gt_i32_e32 vcc_lo, 31, v12
	v_cndmask_b32_e32 v13, 0x7c00, v13, vcc_lo
	v_cmp_gt_i32_e32 vcc_lo, 31, v14
	v_cndmask_b32_e32 v8, 0x7c00, v8, vcc_lo
	v_cmp_eq_u32_e32 vcc_lo, 0x40f, v12
	v_cndmask_b32_e32 v6, v13, v6, vcc_lo
	v_cmp_eq_u32_e32 vcc_lo, 0x40f, v14
	v_and_or_b32 v6, 0x8000, v9, v6
	v_cndmask_b32_e32 v8, v8, v10, vcc_lo
	v_add_co_u32 v4, vcc_lo, v4, s4
	v_add_co_ci_u32_e32 v5, vcc_lo, s3, v5, vcc_lo
	v_and_or_b32 v8, 0x8000, v11, v8
	v_and_b32_e32 v6, 0xffff, v6
	v_lshl_or_b32 v6, v8, 16, v6
	global_store_dword v[4:5], v6, off
	global_load_dword v0, v[0:1], off offset:1784
	v_lshrrev_b32_e32 v1, 16, v7
	s_waitcnt vmcnt(0)
	v_mul_f16_sdwa v6, v1, v0 dst_sel:DWORD dst_unused:UNUSED_PAD src0_sel:DWORD src1_sel:WORD_1
	v_mul_f16_sdwa v8, v7, v0 dst_sel:DWORD dst_unused:UNUSED_PAD src0_sel:DWORD src1_sel:WORD_1
	v_fmac_f16_e32 v6, v7, v0
	v_fma_f16 v0, v0, v1, -v8
	v_cvt_f32_f16_e32 v1, v6
	v_cvt_f32_f16_e32 v6, v0
	v_cvt_f64_f32_e32 v[0:1], v1
	v_cvt_f64_f32_e32 v[6:7], v6
	v_mul_f64 v[0:1], v[0:1], s[8:9]
	v_mul_f64 v[6:7], v[6:7], s[8:9]
	v_and_or_b32 v0, 0x1ff, v1, v0
	v_and_or_b32 v6, 0x1ff, v7, v6
	v_lshrrev_b32_e32 v8, 8, v1
	v_bfe_u32 v9, v1, 20, 11
	v_lshrrev_b32_e32 v10, 8, v7
	v_cmp_ne_u32_e32 vcc_lo, 0, v0
	v_bfe_u32 v11, v7, 20, 11
	v_lshrrev_b32_e32 v1, 16, v1
	v_sub_nc_u32_e32 v12, 0x3f1, v9
	v_add_nc_u32_e32 v9, 0xfffffc10, v9
	v_cndmask_b32_e64 v0, 0, 1, vcc_lo
	v_cmp_ne_u32_e32 vcc_lo, 0, v6
	v_lshrrev_b32_e32 v7, 16, v7
	v_and_or_b32 v0, 0xffe, v8, v0
	v_cndmask_b32_e64 v6, 0, 1, vcc_lo
	v_sub_nc_u32_e32 v8, 0x3f1, v11
	v_add_nc_u32_e32 v11, 0xfffffc10, v11
	v_and_or_b32 v6, 0xffe, v10, v6
	v_med3_i32 v10, v12, 0, 13
	v_or_b32_e32 v12, 0x1000, v0
	v_med3_i32 v8, v8, 0, 13
	v_or_b32_e32 v13, 0x1000, v6
	v_lshrrev_b32_e32 v14, v10, v12
	v_lshrrev_b32_e32 v15, v8, v13
	v_lshlrev_b32_e32 v10, v10, v14
	v_lshlrev_b32_e32 v8, v8, v15
	v_cmp_ne_u32_e32 vcc_lo, v10, v12
	v_lshl_or_b32 v12, v9, 12, v0
	v_cndmask_b32_e64 v10, 0, 1, vcc_lo
	v_cmp_ne_u32_e32 vcc_lo, v8, v13
	v_lshl_or_b32 v13, v11, 12, v6
	v_or_b32_e32 v10, v14, v10
	v_cndmask_b32_e64 v8, 0, 1, vcc_lo
	v_cmp_gt_i32_e32 vcc_lo, 1, v9
	v_or_b32_e32 v8, v15, v8
	v_cndmask_b32_e32 v10, v12, v10, vcc_lo
	v_cmp_gt_i32_e32 vcc_lo, 1, v11
	v_and_b32_e32 v12, 7, v10
	v_cndmask_b32_e32 v8, v13, v8, vcc_lo
	v_cmp_ne_u32_e32 vcc_lo, 0, v0
	v_lshrrev_b32_e32 v10, 2, v10
	v_cmp_eq_u32_e64 s0, 3, v12
	v_and_b32_e32 v13, 7, v8
	v_cndmask_b32_e64 v0, 0, 1, vcc_lo
	v_cmp_ne_u32_e32 vcc_lo, 0, v6
	v_lshrrev_b32_e32 v8, 2, v8
	v_cmp_lt_i32_e64 s1, 5, v13
	v_cmp_eq_u32_e64 s2, 3, v13
	v_cndmask_b32_e64 v6, 0, 1, vcc_lo
	v_cmp_lt_i32_e32 vcc_lo, 5, v12
	v_lshl_or_b32 v0, v0, 9, 0x7c00
	v_lshl_or_b32 v6, v6, 9, 0x7c00
	s_or_b32 vcc_lo, s0, vcc_lo
	v_add_co_ci_u32_e32 v10, vcc_lo, 0, v10, vcc_lo
	s_or_b32 vcc_lo, s2, s1
	v_add_co_ci_u32_e32 v8, vcc_lo, 0, v8, vcc_lo
	v_cmp_gt_i32_e32 vcc_lo, 31, v9
	v_cndmask_b32_e32 v10, 0x7c00, v10, vcc_lo
	v_cmp_gt_i32_e32 vcc_lo, 31, v11
	v_cndmask_b32_e32 v8, 0x7c00, v8, vcc_lo
	v_cmp_eq_u32_e32 vcc_lo, 0x40f, v9
	v_cndmask_b32_e32 v0, v10, v0, vcc_lo
	v_cmp_eq_u32_e32 vcc_lo, 0x40f, v11
	v_and_or_b32 v0, 0x8000, v1, v0
	v_cndmask_b32_e32 v6, v8, v6, vcc_lo
	v_and_or_b32 v6, 0x8000, v7, v6
	v_and_b32_e32 v7, 0xffff, v0
	v_add_co_u32 v0, vcc_lo, v4, s4
	v_add_co_ci_u32_e32 v1, vcc_lo, s3, v5, vcc_lo
	v_add_co_u32 v2, vcc_lo, 0x1800, v2
	v_lshl_or_b32 v4, v6, 16, v7
	v_add_co_ci_u32_e32 v3, vcc_lo, 0, v3, vcc_lo
	global_store_dword v[0:1], v4, off
	global_load_dword v6, v[2:3], off offset:156
	v_add_nc_u32_e32 v4, 0x1800, v63
	ds_read2_b32 v[4:5], v4 offset0:39 offset1:144
	s_waitcnt lgkmcnt(0)
	v_lshrrev_b32_e32 v7, 16, v4
	s_waitcnt vmcnt(0)
	v_mul_f16_sdwa v8, v7, v6 dst_sel:DWORD dst_unused:UNUSED_PAD src0_sel:DWORD src1_sel:WORD_1
	v_mul_f16_sdwa v9, v4, v6 dst_sel:DWORD dst_unused:UNUSED_PAD src0_sel:DWORD src1_sel:WORD_1
	v_fmac_f16_e32 v8, v4, v6
	v_fma_f16 v4, v6, v7, -v9
	v_cvt_f32_f16_e32 v6, v8
	v_cvt_f32_f16_e32 v4, v4
	v_cvt_f64_f32_e32 v[6:7], v6
	v_cvt_f64_f32_e32 v[8:9], v4
	v_mul_f64 v[6:7], v[6:7], s[8:9]
	v_mul_f64 v[8:9], v[8:9], s[8:9]
	v_and_or_b32 v4, 0x1ff, v7, v6
	v_and_or_b32 v8, 0x1ff, v9, v8
	v_lshrrev_b32_e32 v6, 8, v7
	v_bfe_u32 v10, v7, 20, 11
	v_lshrrev_b32_e32 v11, 8, v9
	v_cmp_ne_u32_e32 vcc_lo, 0, v4
	v_bfe_u32 v12, v9, 20, 11
	v_lshrrev_b32_e32 v7, 16, v7
	v_sub_nc_u32_e32 v13, 0x3f1, v10
	v_add_nc_u32_e32 v10, 0xfffffc10, v10
	v_cndmask_b32_e64 v4, 0, 1, vcc_lo
	v_cmp_ne_u32_e32 vcc_lo, 0, v8
	v_lshrrev_b32_e32 v9, 16, v9
	v_and_or_b32 v4, 0xffe, v6, v4
	v_cndmask_b32_e64 v8, 0, 1, vcc_lo
	v_sub_nc_u32_e32 v6, 0x3f1, v12
	v_add_nc_u32_e32 v12, 0xfffffc10, v12
	v_and_or_b32 v8, 0xffe, v11, v8
	v_med3_i32 v11, v13, 0, 13
	v_or_b32_e32 v13, 0x1000, v4
	v_med3_i32 v6, v6, 0, 13
	v_or_b32_e32 v14, 0x1000, v8
	v_lshrrev_b32_e32 v15, v11, v13
	v_lshrrev_b32_e32 v16, v6, v14
	v_lshlrev_b32_e32 v11, v11, v15
	v_lshlrev_b32_e32 v6, v6, v16
	v_cmp_ne_u32_e32 vcc_lo, v11, v13
	v_lshl_or_b32 v13, v10, 12, v4
	v_cndmask_b32_e64 v11, 0, 1, vcc_lo
	v_cmp_ne_u32_e32 vcc_lo, v6, v14
	v_lshl_or_b32 v14, v12, 12, v8
	v_or_b32_e32 v11, v15, v11
	v_cndmask_b32_e64 v6, 0, 1, vcc_lo
	v_cmp_gt_i32_e32 vcc_lo, 1, v10
	v_or_b32_e32 v6, v16, v6
	v_cndmask_b32_e32 v11, v13, v11, vcc_lo
	v_cmp_gt_i32_e32 vcc_lo, 1, v12
	v_and_b32_e32 v13, 7, v11
	v_cndmask_b32_e32 v6, v14, v6, vcc_lo
	v_cmp_ne_u32_e32 vcc_lo, 0, v4
	v_lshrrev_b32_e32 v11, 2, v11
	v_cmp_eq_u32_e64 s0, 3, v13
	v_and_b32_e32 v14, 7, v6
	v_cndmask_b32_e64 v4, 0, 1, vcc_lo
	v_cmp_ne_u32_e32 vcc_lo, 0, v8
	v_lshrrev_b32_e32 v6, 2, v6
	v_cmp_lt_i32_e64 s1, 5, v14
	v_cmp_eq_u32_e64 s2, 3, v14
	v_cndmask_b32_e64 v8, 0, 1, vcc_lo
	v_cmp_lt_i32_e32 vcc_lo, 5, v13
	v_lshl_or_b32 v4, v4, 9, 0x7c00
	v_lshl_or_b32 v8, v8, 9, 0x7c00
	s_or_b32 vcc_lo, s0, vcc_lo
	v_add_co_ci_u32_e32 v11, vcc_lo, 0, v11, vcc_lo
	s_or_b32 vcc_lo, s2, s1
	v_add_co_ci_u32_e32 v6, vcc_lo, 0, v6, vcc_lo
	v_cmp_gt_i32_e32 vcc_lo, 31, v10
	v_cndmask_b32_e32 v11, 0x7c00, v11, vcc_lo
	v_cmp_gt_i32_e32 vcc_lo, 31, v12
	v_cndmask_b32_e32 v6, 0x7c00, v6, vcc_lo
	v_cmp_eq_u32_e32 vcc_lo, 0x40f, v10
	v_cndmask_b32_e32 v4, v11, v4, vcc_lo
	v_cmp_eq_u32_e32 vcc_lo, 0x40f, v12
	v_and_or_b32 v4, 0x8000, v7, v4
	v_cndmask_b32_e32 v6, v6, v8, vcc_lo
	v_add_co_u32 v0, vcc_lo, v0, s4
	v_add_co_ci_u32_e32 v1, vcc_lo, s3, v1, vcc_lo
	v_and_or_b32 v6, 0x8000, v9, v6
	v_and_b32_e32 v4, 0xffff, v4
	v_lshl_or_b32 v4, v6, 16, v4
	global_store_dword v[0:1], v4, off
	global_load_dword v2, v[2:3], off offset:576
	v_lshrrev_b32_e32 v3, 16, v5
	s_waitcnt vmcnt(0)
	v_mul_f16_sdwa v4, v3, v2 dst_sel:DWORD dst_unused:UNUSED_PAD src0_sel:DWORD src1_sel:WORD_1
	v_mul_f16_sdwa v6, v5, v2 dst_sel:DWORD dst_unused:UNUSED_PAD src0_sel:DWORD src1_sel:WORD_1
	v_fmac_f16_e32 v4, v5, v2
	v_fma_f16 v2, v2, v3, -v6
	v_cvt_f32_f16_e32 v3, v4
	v_cvt_f32_f16_e32 v4, v2
	v_cvt_f64_f32_e32 v[2:3], v3
	v_cvt_f64_f32_e32 v[4:5], v4
	v_mul_f64 v[2:3], v[2:3], s[8:9]
	v_mul_f64 v[4:5], v[4:5], s[8:9]
	v_and_or_b32 v2, 0x1ff, v3, v2
	v_and_or_b32 v4, 0x1ff, v5, v4
	v_lshrrev_b32_e32 v6, 8, v3
	v_bfe_u32 v7, v3, 20, 11
	v_lshrrev_b32_e32 v8, 8, v5
	v_cmp_ne_u32_e32 vcc_lo, 0, v2
	v_bfe_u32 v9, v5, 20, 11
	v_lshrrev_b32_e32 v3, 16, v3
	v_sub_nc_u32_e32 v10, 0x3f1, v7
	v_add_nc_u32_e32 v7, 0xfffffc10, v7
	v_cndmask_b32_e64 v2, 0, 1, vcc_lo
	v_cmp_ne_u32_e32 vcc_lo, 0, v4
	v_lshrrev_b32_e32 v5, 16, v5
	v_and_or_b32 v2, 0xffe, v6, v2
	v_cndmask_b32_e64 v4, 0, 1, vcc_lo
	v_sub_nc_u32_e32 v6, 0x3f1, v9
	v_add_nc_u32_e32 v9, 0xfffffc10, v9
	v_and_or_b32 v4, 0xffe, v8, v4
	v_med3_i32 v8, v10, 0, 13
	v_or_b32_e32 v10, 0x1000, v2
	v_med3_i32 v6, v6, 0, 13
	v_or_b32_e32 v11, 0x1000, v4
	v_lshrrev_b32_e32 v12, v8, v10
	v_lshrrev_b32_e32 v13, v6, v11
	v_lshlrev_b32_e32 v8, v8, v12
	v_lshlrev_b32_e32 v6, v6, v13
	v_cmp_ne_u32_e32 vcc_lo, v8, v10
	v_lshl_or_b32 v10, v7, 12, v2
	v_cndmask_b32_e64 v8, 0, 1, vcc_lo
	v_cmp_ne_u32_e32 vcc_lo, v6, v11
	v_lshl_or_b32 v11, v9, 12, v4
	v_or_b32_e32 v8, v12, v8
	v_cndmask_b32_e64 v6, 0, 1, vcc_lo
	v_cmp_gt_i32_e32 vcc_lo, 1, v7
	v_or_b32_e32 v6, v13, v6
	v_cndmask_b32_e32 v8, v10, v8, vcc_lo
	v_cmp_gt_i32_e32 vcc_lo, 1, v9
	v_and_b32_e32 v10, 7, v8
	v_cndmask_b32_e32 v6, v11, v6, vcc_lo
	v_cmp_ne_u32_e32 vcc_lo, 0, v2
	v_lshrrev_b32_e32 v8, 2, v8
	v_cmp_eq_u32_e64 s0, 3, v10
	v_and_b32_e32 v11, 7, v6
	v_cndmask_b32_e64 v2, 0, 1, vcc_lo
	v_cmp_ne_u32_e32 vcc_lo, 0, v4
	v_lshrrev_b32_e32 v6, 2, v6
	v_cmp_lt_i32_e64 s1, 5, v11
	v_cmp_eq_u32_e64 s2, 3, v11
	v_cndmask_b32_e64 v4, 0, 1, vcc_lo
	v_cmp_lt_i32_e32 vcc_lo, 5, v10
	v_lshl_or_b32 v2, v2, 9, 0x7c00
	v_lshl_or_b32 v4, v4, 9, 0x7c00
	s_or_b32 vcc_lo, s0, vcc_lo
	v_add_co_ci_u32_e32 v8, vcc_lo, 0, v8, vcc_lo
	s_or_b32 vcc_lo, s2, s1
	v_add_co_ci_u32_e32 v6, vcc_lo, 0, v6, vcc_lo
	v_cmp_gt_i32_e32 vcc_lo, 31, v7
	v_cndmask_b32_e32 v8, 0x7c00, v8, vcc_lo
	v_cmp_gt_i32_e32 vcc_lo, 31, v9
	v_cndmask_b32_e32 v6, 0x7c00, v6, vcc_lo
	v_cmp_eq_u32_e32 vcc_lo, 0x40f, v7
	v_cndmask_b32_e32 v2, v8, v2, vcc_lo
	v_cmp_eq_u32_e32 vcc_lo, 0x40f, v9
	v_and_or_b32 v2, 0x8000, v3, v2
	v_cndmask_b32_e32 v4, v6, v4, vcc_lo
	v_add_co_u32 v0, vcc_lo, v0, s4
	v_add_co_ci_u32_e32 v1, vcc_lo, s3, v1, vcc_lo
	v_and_or_b32 v3, 0x8000, v5, v4
	v_and_b32_e32 v2, 0xffff, v2
	v_lshl_or_b32 v2, v3, 16, v2
	global_store_dword v[0:1], v2, off
.LBB0_23:
	s_endpgm
	.section	.rodata,"a",@progbits
	.p2align	6, 0x0
	.amdhsa_kernel bluestein_single_fwd_len1785_dim1_half_op_CI_CI
		.amdhsa_group_segment_fixed_size 7140
		.amdhsa_private_segment_fixed_size 0
		.amdhsa_kernarg_size 104
		.amdhsa_user_sgpr_count 6
		.amdhsa_user_sgpr_private_segment_buffer 1
		.amdhsa_user_sgpr_dispatch_ptr 0
		.amdhsa_user_sgpr_queue_ptr 0
		.amdhsa_user_sgpr_kernarg_segment_ptr 1
		.amdhsa_user_sgpr_dispatch_id 0
		.amdhsa_user_sgpr_flat_scratch_init 0
		.amdhsa_user_sgpr_private_segment_size 0
		.amdhsa_wavefront_size32 1
		.amdhsa_uses_dynamic_stack 0
		.amdhsa_system_sgpr_private_segment_wavefront_offset 0
		.amdhsa_system_sgpr_workgroup_id_x 1
		.amdhsa_system_sgpr_workgroup_id_y 0
		.amdhsa_system_sgpr_workgroup_id_z 0
		.amdhsa_system_sgpr_workgroup_info 0
		.amdhsa_system_vgpr_workitem_id 0
		.amdhsa_next_free_vgpr 238
		.amdhsa_next_free_sgpr 16
		.amdhsa_reserve_vcc 1
		.amdhsa_reserve_flat_scratch 0
		.amdhsa_float_round_mode_32 0
		.amdhsa_float_round_mode_16_64 0
		.amdhsa_float_denorm_mode_32 3
		.amdhsa_float_denorm_mode_16_64 3
		.amdhsa_dx10_clamp 1
		.amdhsa_ieee_mode 1
		.amdhsa_fp16_overflow 0
		.amdhsa_workgroup_processor_mode 1
		.amdhsa_memory_ordered 1
		.amdhsa_forward_progress 0
		.amdhsa_shared_vgpr_count 0
		.amdhsa_exception_fp_ieee_invalid_op 0
		.amdhsa_exception_fp_denorm_src 0
		.amdhsa_exception_fp_ieee_div_zero 0
		.amdhsa_exception_fp_ieee_overflow 0
		.amdhsa_exception_fp_ieee_underflow 0
		.amdhsa_exception_fp_ieee_inexact 0
		.amdhsa_exception_int_div_zero 0
	.end_amdhsa_kernel
	.text
.Lfunc_end0:
	.size	bluestein_single_fwd_len1785_dim1_half_op_CI_CI, .Lfunc_end0-bluestein_single_fwd_len1785_dim1_half_op_CI_CI
                                        ; -- End function
	.section	.AMDGPU.csdata,"",@progbits
; Kernel info:
; codeLenInByte = 34500
; NumSgprs: 18
; NumVgprs: 238
; ScratchSize: 0
; MemoryBound: 0
; FloatMode: 240
; IeeeMode: 1
; LDSByteSize: 7140 bytes/workgroup (compile time only)
; SGPRBlocks: 2
; VGPRBlocks: 29
; NumSGPRsForWavesPerEU: 18
; NumVGPRsForWavesPerEU: 238
; Occupancy: 4
; WaveLimiterHint : 1
; COMPUTE_PGM_RSRC2:SCRATCH_EN: 0
; COMPUTE_PGM_RSRC2:USER_SGPR: 6
; COMPUTE_PGM_RSRC2:TRAP_HANDLER: 0
; COMPUTE_PGM_RSRC2:TGID_X_EN: 1
; COMPUTE_PGM_RSRC2:TGID_Y_EN: 0
; COMPUTE_PGM_RSRC2:TGID_Z_EN: 0
; COMPUTE_PGM_RSRC2:TIDIG_COMP_CNT: 0
	.text
	.p2alignl 6, 3214868480
	.fill 48, 4, 3214868480
	.type	__hip_cuid_3845c6694a71b65f,@object ; @__hip_cuid_3845c6694a71b65f
	.section	.bss,"aw",@nobits
	.globl	__hip_cuid_3845c6694a71b65f
__hip_cuid_3845c6694a71b65f:
	.byte	0                               ; 0x0
	.size	__hip_cuid_3845c6694a71b65f, 1

	.ident	"AMD clang version 19.0.0git (https://github.com/RadeonOpenCompute/llvm-project roc-6.4.0 25133 c7fe45cf4b819c5991fe208aaa96edf142730f1d)"
	.section	".note.GNU-stack","",@progbits
	.addrsig
	.addrsig_sym __hip_cuid_3845c6694a71b65f
	.amdgpu_metadata
---
amdhsa.kernels:
  - .args:
      - .actual_access:  read_only
        .address_space:  global
        .offset:         0
        .size:           8
        .value_kind:     global_buffer
      - .actual_access:  read_only
        .address_space:  global
        .offset:         8
        .size:           8
        .value_kind:     global_buffer
      - .actual_access:  read_only
        .address_space:  global
        .offset:         16
        .size:           8
        .value_kind:     global_buffer
      - .actual_access:  read_only
        .address_space:  global
        .offset:         24
        .size:           8
        .value_kind:     global_buffer
      - .actual_access:  read_only
        .address_space:  global
        .offset:         32
        .size:           8
        .value_kind:     global_buffer
      - .offset:         40
        .size:           8
        .value_kind:     by_value
      - .address_space:  global
        .offset:         48
        .size:           8
        .value_kind:     global_buffer
      - .address_space:  global
        .offset:         56
        .size:           8
        .value_kind:     global_buffer
      - .address_space:  global
        .offset:         64
        .size:           8
        .value_kind:     global_buffer
      - .address_space:  global
        .offset:         72
        .size:           8
        .value_kind:     global_buffer
      - .offset:         80
        .size:           4
        .value_kind:     by_value
      - .address_space:  global
        .offset:         88
        .size:           8
        .value_kind:     global_buffer
      - .address_space:  global
        .offset:         96
        .size:           8
        .value_kind:     global_buffer
    .group_segment_fixed_size: 7140
    .kernarg_segment_align: 8
    .kernarg_segment_size: 104
    .language:       OpenCL C
    .language_version:
      - 2
      - 0
    .max_flat_workgroup_size: 119
    .name:           bluestein_single_fwd_len1785_dim1_half_op_CI_CI
    .private_segment_fixed_size: 0
    .sgpr_count:     18
    .sgpr_spill_count: 0
    .symbol:         bluestein_single_fwd_len1785_dim1_half_op_CI_CI.kd
    .uniform_work_group_size: 1
    .uses_dynamic_stack: false
    .vgpr_count:     238
    .vgpr_spill_count: 0
    .wavefront_size: 32
    .workgroup_processor_mode: 1
amdhsa.target:   amdgcn-amd-amdhsa--gfx1030
amdhsa.version:
  - 1
  - 2
...

	.end_amdgpu_metadata
